;; amdgpu-corpus repo=ROCm/rocFFT kind=compiled arch=gfx1201 opt=O3
	.text
	.amdgcn_target "amdgcn-amd-amdhsa--gfx1201"
	.amdhsa_code_object_version 6
	.protected	fft_rtc_back_len1980_factors_11_2_3_3_5_2_wgs_198_tpt_198_halfLds_sp_op_CI_CI_unitstride_sbrr_C2R_dirReg ; -- Begin function fft_rtc_back_len1980_factors_11_2_3_3_5_2_wgs_198_tpt_198_halfLds_sp_op_CI_CI_unitstride_sbrr_C2R_dirReg
	.globl	fft_rtc_back_len1980_factors_11_2_3_3_5_2_wgs_198_tpt_198_halfLds_sp_op_CI_CI_unitstride_sbrr_C2R_dirReg
	.p2align	8
	.type	fft_rtc_back_len1980_factors_11_2_3_3_5_2_wgs_198_tpt_198_halfLds_sp_op_CI_CI_unitstride_sbrr_C2R_dirReg,@function
fft_rtc_back_len1980_factors_11_2_3_3_5_2_wgs_198_tpt_198_halfLds_sp_op_CI_CI_unitstride_sbrr_C2R_dirReg: ; @fft_rtc_back_len1980_factors_11_2_3_3_5_2_wgs_198_tpt_198_halfLds_sp_op_CI_CI_unitstride_sbrr_C2R_dirReg
; %bb.0:
	s_clause 0x2
	s_load_b128 s[8:11], s[0:1], 0x0
	s_load_b128 s[4:7], s[0:1], 0x58
	;; [unrolled: 1-line block ×3, first 2 shown]
	v_mul_u32_u24_e32 v1, 0x14b, v0
	v_mov_b32_e32 v3, 0
	s_delay_alu instid0(VALU_DEP_2) | instskip(NEXT) | instid1(VALU_DEP_1)
	v_lshrrev_b32_e32 v1, 16, v1
	v_add_nc_u32_e32 v5, ttmp9, v1
	v_mov_b32_e32 v1, 0
	v_mov_b32_e32 v2, 0
	;; [unrolled: 1-line block ×3, first 2 shown]
	s_wait_kmcnt 0x0
	v_cmp_lt_u64_e64 s2, s[10:11], 2
	s_delay_alu instid0(VALU_DEP_1)
	s_and_b32 vcc_lo, exec_lo, s2
	s_cbranch_vccnz .LBB0_8
; %bb.1:
	s_load_b64 s[2:3], s[0:1], 0x10
	v_mov_b32_e32 v1, 0
	v_mov_b32_e32 v2, 0
	s_add_nc_u64 s[16:17], s[14:15], 8
	s_add_nc_u64 s[18:19], s[12:13], 8
	s_mov_b64 s[20:21], 1
	s_delay_alu instid0(VALU_DEP_1)
	v_dual_mov_b32 v21, v2 :: v_dual_mov_b32 v20, v1
	s_wait_kmcnt 0x0
	s_add_nc_u64 s[22:23], s[2:3], 8
	s_mov_b32 s3, 0
.LBB0_2:                                ; =>This Inner Loop Header: Depth=1
	s_load_b64 s[24:25], s[22:23], 0x0
                                        ; implicit-def: $vgpr24_vgpr25
	s_mov_b32 s2, exec_lo
	s_wait_kmcnt 0x0
	v_or_b32_e32 v4, s25, v6
	s_delay_alu instid0(VALU_DEP_1)
	v_cmpx_ne_u64_e32 0, v[3:4]
	s_wait_alu 0xfffe
	s_xor_b32 s26, exec_lo, s2
	s_cbranch_execz .LBB0_4
; %bb.3:                                ;   in Loop: Header=BB0_2 Depth=1
	s_cvt_f32_u32 s2, s24
	s_cvt_f32_u32 s27, s25
	s_sub_nc_u64 s[30:31], 0, s[24:25]
	s_wait_alu 0xfffe
	s_delay_alu instid0(SALU_CYCLE_1) | instskip(SKIP_1) | instid1(SALU_CYCLE_2)
	s_fmamk_f32 s2, s27, 0x4f800000, s2
	s_wait_alu 0xfffe
	v_s_rcp_f32 s2, s2
	s_delay_alu instid0(TRANS32_DEP_1) | instskip(SKIP_1) | instid1(SALU_CYCLE_2)
	s_mul_f32 s2, s2, 0x5f7ffffc
	s_wait_alu 0xfffe
	s_mul_f32 s27, s2, 0x2f800000
	s_wait_alu 0xfffe
	s_delay_alu instid0(SALU_CYCLE_2) | instskip(SKIP_1) | instid1(SALU_CYCLE_2)
	s_trunc_f32 s27, s27
	s_wait_alu 0xfffe
	s_fmamk_f32 s2, s27, 0xcf800000, s2
	s_cvt_u32_f32 s29, s27
	s_wait_alu 0xfffe
	s_delay_alu instid0(SALU_CYCLE_1) | instskip(SKIP_1) | instid1(SALU_CYCLE_2)
	s_cvt_u32_f32 s28, s2
	s_wait_alu 0xfffe
	s_mul_u64 s[34:35], s[30:31], s[28:29]
	s_wait_alu 0xfffe
	s_mul_hi_u32 s37, s28, s35
	s_mul_i32 s36, s28, s35
	s_mul_hi_u32 s2, s28, s34
	s_mul_i32 s33, s29, s34
	s_wait_alu 0xfffe
	s_add_nc_u64 s[36:37], s[2:3], s[36:37]
	s_mul_hi_u32 s27, s29, s34
	s_mul_hi_u32 s38, s29, s35
	s_add_co_u32 s2, s36, s33
	s_wait_alu 0xfffe
	s_add_co_ci_u32 s2, s37, s27
	s_mul_i32 s34, s29, s35
	s_add_co_ci_u32 s35, s38, 0
	s_wait_alu 0xfffe
	s_add_nc_u64 s[34:35], s[2:3], s[34:35]
	s_wait_alu 0xfffe
	v_add_co_u32 v4, s2, s28, s34
	s_delay_alu instid0(VALU_DEP_1) | instskip(SKIP_1) | instid1(VALU_DEP_1)
	s_cmp_lg_u32 s2, 0
	s_add_co_ci_u32 s29, s29, s35
	v_readfirstlane_b32 s28, v4
	s_wait_alu 0xfffe
	s_delay_alu instid0(VALU_DEP_1)
	s_mul_u64 s[30:31], s[30:31], s[28:29]
	s_wait_alu 0xfffe
	s_mul_hi_u32 s35, s28, s31
	s_mul_i32 s34, s28, s31
	s_mul_hi_u32 s2, s28, s30
	s_mul_i32 s33, s29, s30
	s_wait_alu 0xfffe
	s_add_nc_u64 s[34:35], s[2:3], s[34:35]
	s_mul_hi_u32 s27, s29, s30
	s_mul_hi_u32 s28, s29, s31
	s_wait_alu 0xfffe
	s_add_co_u32 s2, s34, s33
	s_add_co_ci_u32 s2, s35, s27
	s_mul_i32 s30, s29, s31
	s_add_co_ci_u32 s31, s28, 0
	s_wait_alu 0xfffe
	s_add_nc_u64 s[30:31], s[2:3], s[30:31]
	s_wait_alu 0xfffe
	v_add_co_u32 v4, s2, v4, s30
	s_delay_alu instid0(VALU_DEP_1) | instskip(SKIP_1) | instid1(VALU_DEP_1)
	s_cmp_lg_u32 s2, 0
	s_add_co_ci_u32 s2, s29, s31
	v_mul_hi_u32 v13, v5, v4
	s_wait_alu 0xfffe
	v_mad_co_u64_u32 v[7:8], null, v5, s2, 0
	v_mad_co_u64_u32 v[9:10], null, v6, v4, 0
	;; [unrolled: 1-line block ×3, first 2 shown]
	s_delay_alu instid0(VALU_DEP_3) | instskip(SKIP_1) | instid1(VALU_DEP_4)
	v_add_co_u32 v4, vcc_lo, v13, v7
	s_wait_alu 0xfffd
	v_add_co_ci_u32_e32 v7, vcc_lo, 0, v8, vcc_lo
	s_delay_alu instid0(VALU_DEP_2) | instskip(SKIP_1) | instid1(VALU_DEP_2)
	v_add_co_u32 v4, vcc_lo, v4, v9
	s_wait_alu 0xfffd
	v_add_co_ci_u32_e32 v4, vcc_lo, v7, v10, vcc_lo
	s_wait_alu 0xfffd
	v_add_co_ci_u32_e32 v7, vcc_lo, 0, v12, vcc_lo
	s_delay_alu instid0(VALU_DEP_2) | instskip(SKIP_1) | instid1(VALU_DEP_2)
	v_add_co_u32 v4, vcc_lo, v4, v11
	s_wait_alu 0xfffd
	v_add_co_ci_u32_e32 v9, vcc_lo, 0, v7, vcc_lo
	s_delay_alu instid0(VALU_DEP_2) | instskip(SKIP_1) | instid1(VALU_DEP_3)
	v_mul_lo_u32 v10, s25, v4
	v_mad_co_u64_u32 v[7:8], null, s24, v4, 0
	v_mul_lo_u32 v11, s24, v9
	s_delay_alu instid0(VALU_DEP_2) | instskip(NEXT) | instid1(VALU_DEP_2)
	v_sub_co_u32 v7, vcc_lo, v5, v7
	v_add3_u32 v8, v8, v11, v10
	s_delay_alu instid0(VALU_DEP_1) | instskip(SKIP_1) | instid1(VALU_DEP_1)
	v_sub_nc_u32_e32 v10, v6, v8
	s_wait_alu 0xfffd
	v_subrev_co_ci_u32_e64 v10, s2, s25, v10, vcc_lo
	v_add_co_u32 v11, s2, v4, 2
	s_wait_alu 0xf1ff
	v_add_co_ci_u32_e64 v12, s2, 0, v9, s2
	v_sub_co_u32 v13, s2, v7, s24
	v_sub_co_ci_u32_e32 v8, vcc_lo, v6, v8, vcc_lo
	s_wait_alu 0xf1ff
	v_subrev_co_ci_u32_e64 v10, s2, 0, v10, s2
	s_delay_alu instid0(VALU_DEP_3) | instskip(NEXT) | instid1(VALU_DEP_3)
	v_cmp_le_u32_e32 vcc_lo, s24, v13
	v_cmp_eq_u32_e64 s2, s25, v8
	s_wait_alu 0xfffd
	v_cndmask_b32_e64 v13, 0, -1, vcc_lo
	v_cmp_le_u32_e32 vcc_lo, s25, v10
	s_wait_alu 0xfffd
	v_cndmask_b32_e64 v14, 0, -1, vcc_lo
	v_cmp_le_u32_e32 vcc_lo, s24, v7
	;; [unrolled: 3-line block ×3, first 2 shown]
	s_wait_alu 0xfffd
	v_cndmask_b32_e64 v15, 0, -1, vcc_lo
	v_cmp_eq_u32_e32 vcc_lo, s25, v10
	s_wait_alu 0xf1ff
	s_delay_alu instid0(VALU_DEP_2)
	v_cndmask_b32_e64 v7, v15, v7, s2
	s_wait_alu 0xfffd
	v_cndmask_b32_e32 v10, v14, v13, vcc_lo
	v_add_co_u32 v13, vcc_lo, v4, 1
	s_wait_alu 0xfffd
	v_add_co_ci_u32_e32 v14, vcc_lo, 0, v9, vcc_lo
	s_delay_alu instid0(VALU_DEP_3) | instskip(SKIP_1) | instid1(VALU_DEP_2)
	v_cmp_ne_u32_e32 vcc_lo, 0, v10
	s_wait_alu 0xfffd
	v_cndmask_b32_e32 v8, v14, v12, vcc_lo
	v_cndmask_b32_e32 v10, v13, v11, vcc_lo
	v_cmp_ne_u32_e32 vcc_lo, 0, v7
	s_wait_alu 0xfffd
	s_delay_alu instid0(VALU_DEP_2)
	v_dual_cndmask_b32 v25, v9, v8 :: v_dual_cndmask_b32 v24, v4, v10
.LBB0_4:                                ;   in Loop: Header=BB0_2 Depth=1
	s_wait_alu 0xfffe
	s_and_not1_saveexec_b32 s2, s26
	s_cbranch_execz .LBB0_6
; %bb.5:                                ;   in Loop: Header=BB0_2 Depth=1
	v_cvt_f32_u32_e32 v4, s24
	s_sub_co_i32 s26, 0, s24
	v_mov_b32_e32 v25, v3
	s_delay_alu instid0(VALU_DEP_2) | instskip(NEXT) | instid1(TRANS32_DEP_1)
	v_rcp_iflag_f32_e32 v4, v4
	v_mul_f32_e32 v4, 0x4f7ffffe, v4
	s_delay_alu instid0(VALU_DEP_1) | instskip(SKIP_1) | instid1(VALU_DEP_1)
	v_cvt_u32_f32_e32 v4, v4
	s_wait_alu 0xfffe
	v_mul_lo_u32 v7, s26, v4
	s_delay_alu instid0(VALU_DEP_1) | instskip(NEXT) | instid1(VALU_DEP_1)
	v_mul_hi_u32 v7, v4, v7
	v_add_nc_u32_e32 v4, v4, v7
	s_delay_alu instid0(VALU_DEP_1) | instskip(NEXT) | instid1(VALU_DEP_1)
	v_mul_hi_u32 v4, v5, v4
	v_mul_lo_u32 v7, v4, s24
	v_add_nc_u32_e32 v8, 1, v4
	s_delay_alu instid0(VALU_DEP_2) | instskip(NEXT) | instid1(VALU_DEP_1)
	v_sub_nc_u32_e32 v7, v5, v7
	v_subrev_nc_u32_e32 v9, s24, v7
	v_cmp_le_u32_e32 vcc_lo, s24, v7
	s_wait_alu 0xfffd
	s_delay_alu instid0(VALU_DEP_2) | instskip(NEXT) | instid1(VALU_DEP_1)
	v_dual_cndmask_b32 v7, v7, v9 :: v_dual_cndmask_b32 v4, v4, v8
	v_cmp_le_u32_e32 vcc_lo, s24, v7
	s_delay_alu instid0(VALU_DEP_2) | instskip(SKIP_1) | instid1(VALU_DEP_1)
	v_add_nc_u32_e32 v8, 1, v4
	s_wait_alu 0xfffd
	v_cndmask_b32_e32 v24, v4, v8, vcc_lo
.LBB0_6:                                ;   in Loop: Header=BB0_2 Depth=1
	s_wait_alu 0xfffe
	s_or_b32 exec_lo, exec_lo, s2
	v_mul_lo_u32 v4, v25, s24
	s_delay_alu instid0(VALU_DEP_2)
	v_mul_lo_u32 v9, v24, s25
	s_load_b64 s[26:27], s[18:19], 0x0
	v_mad_co_u64_u32 v[7:8], null, v24, s24, 0
	s_load_b64 s[24:25], s[16:17], 0x0
	s_add_nc_u64 s[20:21], s[20:21], 1
	s_add_nc_u64 s[16:17], s[16:17], 8
	s_wait_alu 0xfffe
	v_cmp_ge_u64_e64 s2, s[20:21], s[10:11]
	s_add_nc_u64 s[18:19], s[18:19], 8
	s_add_nc_u64 s[22:23], s[22:23], 8
	v_add3_u32 v4, v8, v9, v4
	v_sub_co_u32 v5, vcc_lo, v5, v7
	s_wait_alu 0xfffd
	s_delay_alu instid0(VALU_DEP_2) | instskip(SKIP_2) | instid1(VALU_DEP_1)
	v_sub_co_ci_u32_e32 v4, vcc_lo, v6, v4, vcc_lo
	s_and_b32 vcc_lo, exec_lo, s2
	s_wait_kmcnt 0x0
	v_mul_lo_u32 v6, s26, v4
	v_mul_lo_u32 v7, s27, v5
	v_mad_co_u64_u32 v[1:2], null, s26, v5, v[1:2]
	v_mul_lo_u32 v4, s24, v4
	v_mul_lo_u32 v8, s25, v5
	v_mad_co_u64_u32 v[20:21], null, s24, v5, v[20:21]
	s_delay_alu instid0(VALU_DEP_4) | instskip(NEXT) | instid1(VALU_DEP_2)
	v_add3_u32 v2, v7, v2, v6
	v_add3_u32 v21, v8, v21, v4
	s_wait_alu 0xfffe
	s_cbranch_vccnz .LBB0_9
; %bb.7:                                ;   in Loop: Header=BB0_2 Depth=1
	v_dual_mov_b32 v5, v24 :: v_dual_mov_b32 v6, v25
	s_branch .LBB0_2
.LBB0_8:
	v_dual_mov_b32 v21, v2 :: v_dual_mov_b32 v20, v1
	v_dual_mov_b32 v25, v6 :: v_dual_mov_b32 v24, v5
.LBB0_9:
	s_load_b64 s[0:1], s[0:1], 0x28
	v_mul_hi_u32 v5, 0x14afd6b, v0
	s_lshl_b64 s[10:11], s[10:11], 3
                                        ; implicit-def: $vgpr22
                                        ; implicit-def: $vgpr3_vgpr4
	s_wait_alu 0xfffe
	s_add_nc_u64 s[2:3], s[14:15], s[10:11]
	s_wait_kmcnt 0x0
	v_cmp_gt_u64_e32 vcc_lo, s[0:1], v[24:25]
	v_cmp_le_u64_e64 s0, s[0:1], v[24:25]
	s_delay_alu instid0(VALU_DEP_1)
	s_and_saveexec_b32 s1, s0
	s_wait_alu 0xfffe
	s_xor_b32 s0, exec_lo, s1
; %bb.10:
	v_mul_u32_u24_e32 v1, 0xc6, v5
	v_mov_b32_e32 v23, 0
                                        ; implicit-def: $vgpr5
	s_delay_alu instid0(VALU_DEP_2) | instskip(NEXT) | instid1(VALU_DEP_1)
	v_sub_nc_u32_e32 v22, v0, v1
                                        ; implicit-def: $vgpr0
                                        ; implicit-def: $vgpr1_vgpr2
	v_dual_mov_b32 v3, v22 :: v_dual_mov_b32 v4, v23
; %bb.11:
	s_wait_alu 0xfffe
	s_or_saveexec_b32 s1, s0
	s_load_b64 s[2:3], s[2:3], 0x0
	s_xor_b32 exec_lo, exec_lo, s1
	s_cbranch_execz .LBB0_15
; %bb.12:
	s_add_nc_u64 s[10:11], s[12:13], s[10:11]
	v_mul_u32_u24_e32 v5, 0xc6, v5
	s_load_b64 s[10:11], s[10:11], 0x0
	v_lshlrev_b64_e32 v[1:2], 3, v[1:2]
	v_mov_b32_e32 v23, 0
	s_delay_alu instid0(VALU_DEP_3) | instskip(SKIP_4) | instid1(VALU_DEP_1)
	v_sub_nc_u32_e32 v22, v0, v5
	s_wait_kmcnt 0x0
	v_mul_lo_u32 v6, s11, v24
	v_mul_lo_u32 v7, s10, v25
	v_mad_co_u64_u32 v[3:4], null, s10, v24, 0
	v_add3_u32 v4, v4, v7, v6
	s_delay_alu instid0(VALU_DEP_1) | instskip(NEXT) | instid1(VALU_DEP_1)
	v_lshlrev_b64_e32 v[3:4], 3, v[3:4]
	v_add_co_u32 v0, s0, s4, v3
	s_wait_alu 0xf1ff
	s_delay_alu instid0(VALU_DEP_2) | instskip(SKIP_1) | instid1(VALU_DEP_3)
	v_add_co_ci_u32_e64 v3, s0, s5, v4, s0
	v_lshlrev_b32_e32 v4, 3, v22
	v_add_co_u32 v0, s0, v0, v1
	s_wait_alu 0xf1ff
	s_delay_alu instid0(VALU_DEP_3) | instskip(SKIP_1) | instid1(VALU_DEP_2)
	v_add_co_ci_u32_e64 v1, s0, v3, v2, s0
	s_mov_b32 s4, exec_lo
	v_add_co_u32 v2, s0, v0, v4
	s_wait_alu 0xf1ff
	s_delay_alu instid0(VALU_DEP_2)
	v_add_co_ci_u32_e64 v3, s0, 0, v1, s0
	s_clause 0x9
	global_load_b64 v[5:6], v[2:3], off
	global_load_b64 v[7:8], v[2:3], off offset:1584
	global_load_b64 v[9:10], v[2:3], off offset:3168
	;; [unrolled: 1-line block ×9, first 2 shown]
	v_dual_mov_b32 v3, v22 :: v_dual_add_nc_u32 v2, 0, v4
	s_delay_alu instid0(VALU_DEP_1)
	v_dual_mov_b32 v4, v23 :: v_dual_add_nc_u32 v19, 0xc00, v2
	v_add_nc_u32_e32 v32, 0x1800, v2
	v_add_nc_u32_e32 v33, 0x2400, v2
	;; [unrolled: 1-line block ×3, first 2 shown]
	s_wait_loadcnt 0x8
	ds_store_2addr_b64 v2, v[5:6], v[7:8] offset1:198
	s_wait_loadcnt 0x6
	ds_store_2addr_b64 v19, v[9:10], v[11:12] offset0:12 offset1:210
	s_wait_loadcnt 0x4
	ds_store_2addr_b64 v32, v[13:14], v[15:16] offset0:24 offset1:222
	;; [unrolled: 2-line block ×4, first 2 shown]
	v_cmpx_eq_u32_e32 0xc5, v22
	s_cbranch_execz .LBB0_14
; %bb.13:
	global_load_b64 v[0:1], v[0:1], off offset:15840
	v_dual_mov_b32 v3, 0xc5 :: v_dual_mov_b32 v22, 0xc5
	v_mov_b32_e32 v4, 0
	s_wait_loadcnt 0x0
	ds_store_b64 v23, v[0:1] offset:15840
.LBB0_14:
	s_wait_alu 0xfffe
	s_or_b32 exec_lo, exec_lo, s4
.LBB0_15:
	s_delay_alu instid0(SALU_CYCLE_1)
	s_or_b32 exec_lo, exec_lo, s1
	v_lshlrev_b32_e32 v0, 3, v22
	global_wb scope:SCOPE_SE
	s_wait_dscnt 0x0
	s_wait_kmcnt 0x0
	s_barrier_signal -1
	s_barrier_wait -1
	global_inv scope:SCOPE_SE
	v_add_nc_u32_e32 v36, 0, v0
	v_sub_nc_u32_e32 v2, 0, v0
	v_lshlrev_b64_e32 v[26:27], 3, v[3:4]
	s_mov_b32 s1, exec_lo
	ds_load_b32 v5, v36
	ds_load_b32 v6, v2 offset:15840
	s_wait_dscnt 0x0
	v_dual_sub_f32 v1, v5, v6 :: v_dual_add_f32 v0, v6, v5
	v_cmpx_ne_u32_e32 0, v22
	s_wait_alu 0xfffe
	s_xor_b32 s1, exec_lo, s1
	s_cbranch_execz .LBB0_17
; %bb.16:
	v_add_co_u32 v0, s0, s8, v26
	s_wait_alu 0xf1ff
	v_add_co_ci_u32_e64 v1, s0, s9, v27, s0
	v_dual_add_f32 v7, v6, v5 :: v_dual_sub_f32 v8, v5, v6
	global_load_b64 v[3:4], v[0:1], off offset:15752
	ds_load_b32 v0, v2 offset:15844
	ds_load_b32 v1, v36 offset:4
	s_wait_dscnt 0x0
	v_dual_add_f32 v9, v0, v1 :: v_dual_sub_f32 v0, v1, v0
	s_wait_loadcnt 0x0
	v_fma_f32 v5, -v8, v4, v7
	s_delay_alu instid0(VALU_DEP_2) | instskip(SKIP_2) | instid1(VALU_DEP_3)
	v_fma_f32 v6, v9, v4, -v0
	v_fma_f32 v10, v8, v4, v7
	v_fma_f32 v1, v9, v4, v0
	v_dual_fmac_f32 v5, v3, v9 :: v_dual_fmac_f32 v6, v8, v3
	s_delay_alu instid0(VALU_DEP_3) | instskip(NEXT) | instid1(VALU_DEP_3)
	v_fma_f32 v0, -v3, v9, v10
	v_fmac_f32_e32 v1, v8, v3
	ds_store_b64 v2, v[5:6] offset:15840
.LBB0_17:
	s_wait_alu 0xfffe
	s_and_not1_saveexec_b32 s0, s1
	s_cbranch_execz .LBB0_19
; %bb.18:
	v_mov_b32_e32 v5, 0
	ds_load_b64 v[3:4], v5 offset:7920
	s_wait_dscnt 0x0
	v_dual_mul_f32 v4, -2.0, v4 :: v_dual_add_f32 v3, v3, v3
	ds_store_b64 v5, v[3:4] offset:7920
.LBB0_19:
	s_wait_alu 0xfffe
	s_or_b32 exec_lo, exec_lo, s0
	v_mov_b32_e32 v23, 0
	s_add_nc_u64 s[0:1], s[8:9], 0x3d88
	s_delay_alu instid0(VALU_DEP_1) | instskip(SKIP_1) | instid1(VALU_DEP_1)
	v_lshlrev_b64_e32 v[28:29], 3, v[22:23]
	s_wait_alu 0xfffe
	v_add_co_u32 v3, s0, s0, v28
	s_wait_alu 0xf1ff
	s_delay_alu instid0(VALU_DEP_2)
	v_add_co_ci_u32_e64 v4, s0, s1, v29, s0
	s_mov_b32 s1, exec_lo
	s_clause 0x3
	global_load_b64 v[5:6], v[3:4], off offset:1584
	global_load_b64 v[7:8], v[3:4], off offset:3168
	;; [unrolled: 1-line block ×4, first 2 shown]
	ds_store_b64 v36, v[0:1]
	ds_load_b64 v[0:1], v36 offset:1584
	ds_load_b64 v[11:12], v2 offset:14256
	s_wait_dscnt 0x0
	v_add_f32_e32 v14, v12, v1
	v_add_f32_e32 v13, v0, v11
	v_dual_sub_f32 v15, v0, v11 :: v_dual_sub_f32 v0, v1, v12
	s_wait_loadcnt 0x3
	s_delay_alu instid0(VALU_DEP_1) | instskip(NEXT) | instid1(VALU_DEP_2)
	v_fma_f32 v16, v15, v6, v13
	v_fma_f32 v1, v14, v6, v0
	v_fma_f32 v11, -v15, v6, v13
	v_fma_f32 v12, v14, v6, -v0
	s_delay_alu instid0(VALU_DEP_4) | instskip(NEXT) | instid1(VALU_DEP_4)
	v_fma_f32 v0, -v5, v14, v16
	v_fmac_f32_e32 v1, v15, v5
	s_delay_alu instid0(VALU_DEP_3)
	v_dual_fmac_f32 v11, v5, v14 :: v_dual_fmac_f32 v12, v15, v5
	ds_store_b64 v36, v[0:1] offset:1584
	ds_store_b64 v2, v[11:12] offset:14256
	ds_load_b64 v[0:1], v36 offset:3168
	ds_load_b64 v[5:6], v2 offset:12672
	s_wait_dscnt 0x0
	v_add_f32_e32 v11, v0, v5
	v_add_f32_e32 v12, v6, v1
	v_dual_sub_f32 v13, v0, v5 :: v_dual_sub_f32 v0, v1, v6
	s_wait_loadcnt 0x2
	s_delay_alu instid0(VALU_DEP_1) | instskip(NEXT) | instid1(VALU_DEP_2)
	v_fma_f32 v14, v13, v8, v11
	v_fma_f32 v1, v12, v8, v0
	v_fma_f32 v5, -v13, v8, v11
	v_fma_f32 v6, v12, v8, -v0
	s_delay_alu instid0(VALU_DEP_4) | instskip(NEXT) | instid1(VALU_DEP_4)
	v_fma_f32 v0, -v7, v12, v14
	v_fmac_f32_e32 v1, v13, v7
	s_delay_alu instid0(VALU_DEP_3)
	v_dual_fmac_f32 v5, v7, v12 :: v_dual_fmac_f32 v6, v13, v7
	ds_store_b64 v36, v[0:1] offset:3168
	ds_store_b64 v2, v[5:6] offset:12672
	;; [unrolled: 19-line block ×3, first 2 shown]
	ds_load_b64 v[0:1], v36 offset:6336
	ds_load_b64 v[5:6], v2 offset:9504
	s_wait_dscnt 0x0
	v_add_f32_e32 v8, v6, v1
	v_add_f32_e32 v7, v0, v5
	v_dual_sub_f32 v9, v0, v5 :: v_dual_sub_f32 v0, v1, v6
	s_wait_loadcnt 0x0
	s_delay_alu instid0(VALU_DEP_1) | instskip(NEXT) | instid1(VALU_DEP_2)
	v_fma_f32 v10, v9, v4, v7
	v_fma_f32 v1, v8, v4, v0
	v_fma_f32 v5, -v9, v4, v7
	v_fma_f32 v6, v8, v4, -v0
	v_add_nc_u32_e32 v4, 0xa00, v36
	v_fma_f32 v0, -v3, v8, v10
	v_fmac_f32_e32 v1, v9, v3
	v_fmac_f32_e32 v5, v3, v8
	v_add_nc_u32_e32 v8, 0x1600, v36
	v_dual_fmac_f32 v6, v9, v3 :: v_dual_add_nc_u32 v9, 0x2000, v36
	v_add_nc_u32_e32 v7, 0x2c00, v36
	ds_store_b64 v36, v[0:1] offset:6336
	ds_store_b64 v2, v[5:6] offset:9504
	global_wb scope:SCOPE_SE
	s_wait_dscnt 0x0
	s_barrier_signal -1
	s_barrier_wait -1
	global_inv scope:SCOPE_SE
	global_wb scope:SCOPE_SE
	s_barrier_signal -1
	s_barrier_wait -1
	global_inv scope:SCOPE_SE
	ds_load_2addr_b64 v[0:3], v36 offset1:180
	ds_load_b64 v[32:33], v36 offset:14400
	ds_load_2addr_b64 v[16:19], v4 offset0:40 offset1:220
	ds_load_2addr_b64 v[4:7], v7 offset0:32 offset1:212
	ds_load_2addr_b64 v[12:15], v8 offset0:16 offset1:196
	ds_load_2addr_b64 v[8:11], v9 offset0:56 offset1:236
	global_wb scope:SCOPE_SE
	s_wait_dscnt 0x0
	s_barrier_signal -1
	s_barrier_wait -1
	global_inv scope:SCOPE_SE
	v_add_f32_e32 v23, v32, v2
	v_dual_add_f32 v65, v33, v3 :: v_dual_add_f32 v60, v7, v17
	v_dual_sub_f32 v42, v12, v10 :: v_dual_sub_f32 v55, v3, v33
	v_add_f32_e32 v64, v11, v13
	v_sub_f32_e32 v61, v19, v5
	s_delay_alu instid0(VALU_DEP_4)
	v_dual_sub_f32 v59, v17, v7 :: v_dual_mul_f32 v58, 0x3f575c64, v65
	v_dual_mul_f32 v54, 0x3ed4b147, v60 :: v_dual_add_f32 v39, v4, v18
	v_mul_f32_e32 v52, 0xbf0a6770, v55
	v_mul_f32_e32 v50, 0xbf27a4f4, v64
	v_dual_add_f32 v41, v10, v12 :: v_dual_mul_f32 v48, 0xbf7d64f0, v61
	v_dual_add_f32 v37, v6, v16 :: v_dual_sub_f32 v56, v15, v9
	v_sub_f32_e32 v40, v18, v4
	v_fma_f32 v30, 0x3f575c64, v23, -v52
	s_delay_alu instid0(VALU_DEP_4) | instskip(SKIP_2) | instid1(VALU_DEP_4)
	v_fma_f32 v66, 0xbe11bafb, v39, -v48
	v_mul_f32_e32 v49, 0xbf68dda4, v59
	v_dual_sub_f32 v63, v13, v11 :: v_dual_sub_f32 v44, v2, v32
	v_add_f32_e32 v30, v0, v30
	v_dual_add_f32 v43, v8, v14 :: v_dual_mul_f32 v46, 0xbe903f40, v56
	s_delay_alu instid0(VALU_DEP_4) | instskip(SKIP_2) | instid1(VALU_DEP_2)
	v_fma_f32 v34, 0x3ed4b147, v37, -v49
	v_dual_add_f32 v57, v9, v15 :: v_dual_sub_f32 v38, v16, v6
	v_dual_add_f32 v62, v5, v19 :: v_dual_sub_f32 v45, v14, v8
	v_dual_add_f32 v30, v34, v30 :: v_dual_mul_f32 v51, 0xbf75a155, v57
	s_delay_alu instid0(VALU_DEP_3) | instskip(NEXT) | instid1(VALU_DEP_3)
	v_fmamk_f32 v35, v38, 0xbf68dda4, v54
	v_mul_f32_e32 v53, 0xbe11bafb, v62
	s_delay_alu instid0(VALU_DEP_3) | instskip(SKIP_1) | instid1(VALU_DEP_3)
	v_dual_add_f32 v30, v66, v30 :: v_dual_mul_f32 v47, 0xbf4178ce, v63
	v_fma_f32 v66, 0xbf75a155, v43, -v46
	v_fmamk_f32 v67, v40, 0xbf7d64f0, v53
	s_delay_alu instid0(VALU_DEP_3) | instskip(NEXT) | instid1(VALU_DEP_1)
	v_fma_f32 v34, 0xbf27a4f4, v41, -v47
	v_dual_add_f32 v30, v34, v30 :: v_dual_fmamk_f32 v31, v44, 0xbf0a6770, v58
	s_delay_alu instid0(VALU_DEP_1) | instskip(NEXT) | instid1(VALU_DEP_1)
	v_dual_add_f32 v30, v66, v30 :: v_dual_add_f32 v31, v1, v31
	v_add_f32_e32 v31, v35, v31
	v_fmamk_f32 v35, v42, 0xbf4178ce, v50
	s_delay_alu instid0(VALU_DEP_2) | instskip(SKIP_1) | instid1(VALU_DEP_2)
	v_add_f32_e32 v31, v67, v31
	v_fmamk_f32 v67, v45, 0xbe903f40, v51
	v_add_f32_e32 v31, v35, v31
	s_delay_alu instid0(VALU_DEP_1)
	v_add_f32_e32 v31, v67, v31
	v_cmpx_gt_u32_e32 0xb4, v22
	s_cbranch_execz .LBB0_21
; %bb.20:
	v_dual_mul_f32 v74, 0xbf4178ce, v61 :: v_dual_mul_f32 v81, 0xbf4178ce, v55
	v_mul_f32_e32 v77, 0x3f68dda4, v63
	v_mul_f32_e32 v86, 0xbf0a6770, v61
	v_dual_mul_f32 v90, 0x3f575c64, v64 :: v_dual_add_f32 v3, v1, v3
	s_delay_alu instid0(VALU_DEP_4) | instskip(NEXT) | instid1(VALU_DEP_4)
	v_fmamk_f32 v82, v23, 0xbf27a4f4, v81
	v_fmamk_f32 v79, v41, 0x3ed4b147, v77
	v_mul_f32_e32 v72, 0x3f0a6770, v59
	v_fmamk_f32 v78, v39, 0xbf27a4f4, v74
	v_dual_add_f32 v3, v3, v17 :: v_dual_mul_f32 v96, 0xbf0a6770, v44
	v_add_f32_e32 v82, v0, v82
	s_delay_alu instid0(VALU_DEP_4) | instskip(SKIP_4) | instid1(VALU_DEP_4)
	v_fmamk_f32 v76, v37, 0x3f575c64, v72
	v_mul_f32_e32 v70, 0xbe903f40, v55
	v_mul_f32_e32 v66, 0xbf75a155, v65
	v_dual_mul_f32 v83, 0x3f7d64f0, v59 :: v_dual_add_f32 v2, v0, v2
	v_add_f32_e32 v3, v3, v19
	v_fmamk_f32 v73, v23, 0xbf75a155, v70
	v_mul_f32_e32 v68, 0xbf27a4f4, v62
	s_delay_alu instid0(VALU_DEP_4) | instskip(SKIP_3) | instid1(VALU_DEP_4)
	v_fmamk_f32 v85, v37, 0xbe11bafb, v83
	v_mul_f32_e32 v19, 0x3f68dda4, v56
	v_add_f32_e32 v3, v3, v13
	v_dual_add_f32 v73, v0, v73 :: v_dual_mul_f32 v84, 0xbf75a155, v64
	v_dual_add_f32 v82, v85, v82 :: v_dual_fmamk_f32 v85, v39, 0x3f575c64, v86
	v_mul_f32_e32 v89, 0xbf7d64f0, v55
	s_delay_alu instid0(VALU_DEP_3) | instskip(SKIP_3) | instid1(VALU_DEP_4)
	v_add_f32_e32 v73, v76, v73
	v_fmamk_f32 v34, v44, 0x3e903f40, v66
	v_mul_f32_e32 v55, 0xbf68dda4, v55
	v_dual_add_f32 v17, v85, v82 :: v_dual_mul_f32 v82, 0x3ed4b147, v57
	v_add_f32_e32 v73, v78, v73
	s_delay_alu instid0(VALU_DEP_4) | instskip(NEXT) | instid1(VALU_DEP_3)
	v_dual_mul_f32 v67, 0x3f575c64, v60 :: v_dual_add_f32 v34, v1, v34
	v_dual_add_f32 v2, v2, v16 :: v_dual_fmamk_f32 v13, v45, 0xbf68dda4, v82
	v_mul_f32_e32 v85, 0xbf75a155, v60
	s_delay_alu instid0(VALU_DEP_3) | instskip(SKIP_4) | instid1(VALU_DEP_4)
	v_fmamk_f32 v35, v38, 0xbf0a6770, v67
	v_mul_f32_e32 v69, 0x3ed4b147, v64
	v_mul_f32_e32 v88, 0xbe903f40, v63
	v_add_f32_e32 v2, v2, v18
	v_mul_f32_e32 v16, 0xbe11bafb, v65
	v_dual_add_f32 v34, v35, v34 :: v_dual_fmamk_f32 v35, v42, 0xbf68dda4, v69
	v_fmamk_f32 v75, v40, 0x3f4178ce, v68
	v_mul_f32_e32 v71, 0xbe11bafb, v57
	v_fmamk_f32 v18, v41, 0xbf75a155, v88
	v_add_f32_e32 v2, v2, v12
	v_mul_f32_e32 v64, 0xbe11bafb, v64
	v_add_f32_e32 v34, v75, v34
	v_fmamk_f32 v76, v45, 0x3f7d64f0, v71
	v_mul_f32_e32 v75, 0xbf27a4f4, v65
	v_dual_add_f32 v12, v18, v17 :: v_dual_add_f32 v17, v3, v15
	s_delay_alu instid0(VALU_DEP_4) | instskip(SKIP_1) | instid1(VALU_DEP_4)
	v_add_f32_e32 v34, v35, v34
	v_mul_f32_e32 v80, 0xbe11bafb, v60
	v_fmamk_f32 v78, v44, 0x3f4178ce, v75
	v_fmamk_f32 v15, v38, 0xbe903f40, v85
	s_delay_alu instid0(VALU_DEP_4) | instskip(NEXT) | instid1(VALU_DEP_4)
	v_dual_fmac_f32 v68, 0xbf4178ce, v40 :: v_dual_add_f32 v35, v76, v34
	v_fmamk_f32 v76, v38, 0xbf7d64f0, v80
	s_delay_alu instid0(VALU_DEP_4) | instskip(SKIP_3) | instid1(VALU_DEP_4)
	v_add_f32_e32 v34, v1, v78
	v_mul_f32_e32 v78, 0x3f575c64, v62
	v_add_f32_e32 v18, v2, v14
	v_dual_fmamk_f32 v2, v43, 0x3ed4b147, v19 :: v_dual_mul_f32 v65, 0x3ed4b147, v65
	v_add_f32_e32 v34, v76, v34
	s_delay_alu instid0(VALU_DEP_4) | instskip(SKIP_1) | instid1(VALU_DEP_4)
	v_fmamk_f32 v76, v40, 0x3f0a6770, v78
	v_fma_f32 v19, 0x3ed4b147, v43, -v19
	v_dual_add_f32 v2, v2, v12 :: v_dual_mul_f32 v91, 0xbf0a6770, v63
	s_delay_alu instid0(VALU_DEP_3)
	v_dual_mul_f32 v93, 0xbf4178ce, v56 :: v_dual_add_f32 v34, v76, v34
	v_add_f32_e32 v73, v79, v73
	v_mul_f32_e32 v79, 0xbf7d64f0, v56
	v_fmamk_f32 v76, v42, 0x3e903f40, v84
	v_sub_f32_e32 v58, v58, v96
	v_dual_mul_f32 v56, 0x3f0a6770, v56 :: v_dual_add_f32 v17, v17, v9
	s_delay_alu instid0(VALU_DEP_3) | instskip(SKIP_1) | instid1(VALU_DEP_4)
	v_dual_fmamk_f32 v87, v43, 0xbe11bafb, v79 :: v_dual_add_f32 v76, v76, v34
	v_fmamk_f32 v34, v44, 0x3f7d64f0, v16
	v_dual_add_f32 v58, v1, v58 :: v_dual_mul_f32 v97, 0xbf7d64f0, v40
	v_mul_f32_e32 v60, 0xbf27a4f4, v60
	s_delay_alu instid0(VALU_DEP_4) | instskip(NEXT) | instid1(VALU_DEP_4)
	v_add_f32_e32 v3, v13, v76
	v_add_f32_e32 v14, v1, v34
	v_mul_f32_e32 v76, 0x3ed4b147, v62
	v_add_f32_e32 v34, v87, v73
	v_fmamk_f32 v73, v23, 0xbe11bafb, v89
	v_mul_f32_e32 v87, 0x3e903f40, v59
	v_mul_f32_e32 v59, 0xbf4178ce, v59
	;; [unrolled: 1-line block ×4, first 2 shown]
	s_delay_alu instid0(VALU_DEP_4)
	v_dual_add_f32 v12, v0, v73 :: v_dual_fmamk_f32 v13, v37, 0xbf75a155, v87
	v_dual_mul_f32 v73, 0x3f68dda4, v61 :: v_dual_add_f32 v14, v15, v14
	v_fmamk_f32 v15, v40, 0xbf68dda4, v76
	v_fmamk_f32 v95, v37, 0xbf27a4f4, v59
	v_mul_f32_e32 v61, 0x3e903f40, v61
	v_fmamk_f32 v96, v45, 0xbf0a6770, v57
	v_fmamk_f32 v94, v43, 0xbf27a4f4, v93
	v_dual_add_f32 v14, v15, v14 :: v_dual_fmamk_f32 v15, v42, 0x3f0a6770, v90
	v_dual_add_f32 v12, v13, v12 :: v_dual_fmamk_f32 v13, v39, 0x3ed4b147, v73
	v_dual_mul_f32 v62, 0xbf75a155, v62 :: v_dual_sub_f32 v53, v53, v97
	s_delay_alu instid0(VALU_DEP_3) | instskip(NEXT) | instid1(VALU_DEP_3)
	v_dual_add_f32 v14, v15, v14 :: v_dual_fmamk_f32 v15, v45, 0x3f4178ce, v92
	v_add_f32_e32 v12, v13, v12
	v_fmamk_f32 v13, v41, 0x3f575c64, v91
	v_mul_f32_e32 v63, 0x3f7d64f0, v63
	v_fmac_f32_e32 v16, 0xbf7d64f0, v44
	v_fmac_f32_e32 v82, 0x3f68dda4, v45
	;; [unrolled: 1-line block ×3, first 2 shown]
	v_dual_add_f32 v12, v13, v12 :: v_dual_add_f32 v13, v15, v14
	s_delay_alu instid0(VALU_DEP_4) | instskip(SKIP_3) | instid1(VALU_DEP_4)
	v_dual_fmamk_f32 v15, v23, 0x3ed4b147, v55 :: v_dual_add_f32 v16, v1, v16
	v_fmac_f32_e32 v76, 0x3f68dda4, v40
	v_fmac_f32_e32 v67, 0x3f0a6770, v38
	;; [unrolled: 1-line block ×3, first 2 shown]
	v_dual_add_f32 v15, v0, v15 :: v_dual_fmac_f32 v90, 0xbf0a6770, v42
	v_fmac_f32_e32 v71, 0xbf7d64f0, v45
	v_dual_fmac_f32 v66, 0xbe903f40, v44 :: v_dual_add_f32 v11, v17, v11
	s_delay_alu instid0(VALU_DEP_3)
	v_add_f32_e32 v15, v95, v15
	v_fmamk_f32 v95, v39, 0xbf75a155, v61
	v_fmamk_f32 v14, v44, 0x3f68dda4, v65
	v_add_f32_e32 v12, v94, v12
	v_fmamk_f32 v94, v38, 0x3f4178ce, v60
	v_add_f32_e32 v17, v18, v8
	s_delay_alu instid0(VALU_DEP_4) | instskip(SKIP_3) | instid1(VALU_DEP_4)
	v_dual_add_f32 v15, v95, v15 :: v_dual_add_f32 v14, v1, v14
	v_fmamk_f32 v95, v41, 0xbe11bafb, v63
	v_fmac_f32_e32 v60, 0xbf4178ce, v38
	v_dual_add_f32 v18, v1, v66 :: v_dual_add_f32 v5, v11, v5
	v_add_f32_e32 v14, v94, v14
	v_fmamk_f32 v94, v40, 0xbe903f40, v62
	v_dual_add_f32 v10, v17, v10 :: v_dual_fmac_f32 v65, 0xbf68dda4, v44
	s_delay_alu instid0(VALU_DEP_4) | instskip(NEXT) | instid1(VALU_DEP_3)
	v_add_f32_e32 v11, v67, v18
	v_dual_add_f32 v5, v5, v7 :: v_dual_add_f32 v14, v94, v14
	v_fmamk_f32 v94, v42, 0xbf7d64f0, v64
	v_fma_f32 v18, 0x3f575c64, v37, -v72
	v_dual_add_f32 v4, v10, v4 :: v_dual_fmac_f32 v69, 0x3f68dda4, v42
	s_delay_alu instid0(VALU_DEP_3)
	v_dual_add_f32 v7, v68, v11 :: v_dual_add_f32 v14, v94, v14
	v_dual_add_f32 v94, v95, v15 :: v_dual_mul_f32 v15, 0xbf68dda4, v38
	v_mul_f32_e32 v95, 0x3f575c64, v23
	v_fma_f32 v11, 0xbf27a4f4, v39, -v74
	v_add_f32_e32 v4, v4, v6
	v_dual_add_f32 v6, v69, v7 :: v_dual_fmac_f32 v85, 0x3e903f40, v38
	s_delay_alu instid0(VALU_DEP_4) | instskip(SKIP_1) | instid1(VALU_DEP_3)
	v_dual_add_f32 v52, v95, v52 :: v_dual_mul_f32 v95, 0x3ed4b147, v37
	v_add_f32_e32 v5, v5, v33
	v_dual_add_f32 v7, v71, v6 :: v_dual_add_f32 v16, v85, v16
	s_delay_alu instid0(VALU_DEP_3)
	v_dual_add_f32 v52, v0, v52 :: v_dual_add_f32 v49, v95, v49
	v_mul_f32_e32 v95, 0xbe11bafb, v39
	v_fmac_f32_e32 v64, 0x3f7d64f0, v42
	v_mad_u32_u24 v33, 0x50, v22, v36
	v_add_f32_e32 v16, v76, v16
	v_add_f32_e32 v49, v49, v52
	;; [unrolled: 1-line block ×3, first 2 shown]
	v_mul_f32_e32 v52, 0xbe903f40, v45
	v_fmac_f32_e32 v62, 0x3e903f40, v40
	v_dual_add_f32 v16, v90, v16 :: v_dual_fmac_f32 v57, 0x3f0a6770, v45
	s_delay_alu instid0(VALU_DEP_4) | instskip(SKIP_2) | instid1(VALU_DEP_3)
	v_dual_add_f32 v48, v48, v49 :: v_dual_mul_f32 v49, 0xbf75a155, v43
	v_dual_sub_f32 v54, v54, v15 :: v_dual_add_f32 v15, v96, v14
	v_dual_fmac_f32 v84, 0xbe903f40, v42 :: v_dual_sub_f32 v51, v51, v52
	v_add_f32_e32 v46, v49, v46
	s_delay_alu instid0(VALU_DEP_3) | instskip(SKIP_1) | instid1(VALU_DEP_2)
	v_add_f32_e32 v14, v54, v58
	v_mul_f32_e32 v54, 0xbf4178ce, v42
	v_add_f32_e32 v53, v53, v14
	s_delay_alu instid0(VALU_DEP_2) | instskip(SKIP_1) | instid1(VALU_DEP_2)
	v_sub_f32_e32 v50, v50, v54
	v_mul_f32_e32 v54, 0xbf27a4f4, v41
	v_add_f32_e32 v50, v50, v53
	s_delay_alu instid0(VALU_DEP_2) | instskip(NEXT) | instid1(VALU_DEP_2)
	v_add_f32_e32 v47, v54, v47
	v_add_f32_e32 v9, v51, v50
	s_delay_alu instid0(VALU_DEP_2) | instskip(NEXT) | instid1(VALU_DEP_1)
	v_add_f32_e32 v47, v47, v48
	v_add_f32_e32 v8, v46, v47
	v_fma_f32 v46, 0xbf75a155, v23, -v70
	s_delay_alu instid0(VALU_DEP_1) | instskip(NEXT) | instid1(VALU_DEP_1)
	v_dual_fmamk_f32 v58, v43, 0x3f575c64, v56 :: v_dual_add_f32 v17, v0, v46
	v_add_f32_e32 v14, v58, v94
	s_delay_alu instid0(VALU_DEP_2) | instskip(SKIP_2) | instid1(VALU_DEP_3)
	v_add_f32_e32 v10, v18, v17
	v_fma_f32 v17, 0xbf27a4f4, v23, -v81
	v_fma_f32 v18, 0xbe11bafb, v43, -v79
	v_add_f32_e32 v10, v11, v10
	v_fma_f32 v11, 0x3ed4b147, v41, -v77
	s_delay_alu instid0(VALU_DEP_1) | instskip(SKIP_4) | instid1(VALU_DEP_3)
	v_add_f32_e32 v6, v11, v10
	v_add_f32_e32 v10, v1, v75
	;; [unrolled: 1-line block ×4, first 2 shown]
	v_fma_f32 v17, 0xbe11bafb, v37, -v83
	v_dual_add_f32 v1, v60, v1 :: v_dual_fmac_f32 v80, 0x3f7d64f0, v38
	s_delay_alu instid0(VALU_DEP_2) | instskip(SKIP_2) | instid1(VALU_DEP_4)
	v_add_f32_e32 v11, v17, v11
	v_fma_f32 v17, 0x3f575c64, v39, -v86
	v_add_f32_e32 v6, v18, v6
	v_dual_add_f32 v1, v62, v1 :: v_dual_add_f32 v10, v80, v10
	s_delay_alu instid0(VALU_DEP_3) | instskip(SKIP_2) | instid1(VALU_DEP_2)
	v_dual_fmac_f32 v78, 0xbf0a6770, v40 :: v_dual_add_f32 v11, v17, v11
	v_fma_f32 v17, 0xbf75a155, v41, -v88
	v_fma_f32 v18, 0x3ed4b147, v23, -v55
	v_dual_add_f32 v10, v78, v10 :: v_dual_add_f32 v17, v17, v11
	s_delay_alu instid0(VALU_DEP_1) | instskip(NEXT) | instid1(VALU_DEP_1)
	v_add_f32_e32 v10, v84, v10
	v_dual_add_f32 v11, v82, v10 :: v_dual_add_f32 v10, v19, v17
	v_fma_f32 v17, 0xbe11bafb, v23, -v89
	v_fma_f32 v19, 0xbf75a155, v37, -v87
	v_add_f32_e32 v23, v64, v1
	v_add_f32_e32 v1, v92, v16
	s_delay_alu instid0(VALU_DEP_4)
	v_add_f32_e32 v17, v0, v17
	v_add_f32_e32 v0, v0, v18
	v_fma_f32 v18, 0xbf27a4f4, v37, -v59
	v_add_f32_e32 v4, v4, v32
	v_fma_f32 v32, 0x3f575c64, v43, -v56
	;; [unrolled: 2-line block ×4, first 2 shown]
	s_delay_alu instid0(VALU_DEP_3) | instskip(SKIP_1) | instid1(VALU_DEP_3)
	v_add_f32_e32 v17, v19, v17
	v_fma_f32 v19, 0x3f575c64, v41, -v91
	v_add_f32_e32 v0, v18, v0
	v_fma_f32 v18, 0xbe11bafb, v41, -v63
	s_delay_alu instid0(VALU_DEP_3) | instskip(SKIP_1) | instid1(VALU_DEP_3)
	v_add_f32_e32 v17, v19, v17
	v_fma_f32 v19, 0xbf27a4f4, v43, -v93
	v_add_f32_e32 v18, v18, v0
	s_delay_alu instid0(VALU_DEP_2) | instskip(NEXT) | instid1(VALU_DEP_2)
	v_dual_add_f32 v0, v19, v17 :: v_dual_add_f32 v17, v57, v23
	v_add_f32_e32 v16, v32, v18
	ds_store_2addr_b64 v33, v[4:5], v[8:9] offset1:1
	ds_store_2addr_b64 v33, v[14:15], v[12:13] offset0:2 offset1:3
	ds_store_2addr_b64 v33, v[2:3], v[34:35] offset0:4 offset1:5
	;; [unrolled: 1-line block ×4, first 2 shown]
	ds_store_b64 v33, v[30:31] offset:80
.LBB0_21:
	s_wait_alu 0xfffe
	s_or_b32 exec_lo, exec_lo, s1
	v_and_b32_e32 v35, 0xff, v22
	v_add_nc_u32_e32 v0, 0x318, v22
	global_wb scope:SCOPE_SE
	s_wait_dscnt 0x0
	s_barrier_signal -1
	s_barrier_wait -1
	v_mul_lo_u16 v1, 0x75, v35
	v_and_b32_e32 v2, 0xffff, v0
	global_inv scope:SCOPE_SE
	v_add_nc_u32_e32 v23, 0x252, v22
	v_add_nc_u32_e32 v8, 0x1800, v36
	v_lshrrev_b16 v1, 8, v1
	v_mul_u32_u24_e32 v2, 0xba2f, v2
	v_add_nc_u32_e32 v14, 0x2400, v36
	v_add_nc_u32_e32 v44, 0xc00, v36
	;; [unrolled: 1-line block ×3, first 2 shown]
	v_sub_nc_u16 v3, v22, v1
	v_lshrrev_b32_e32 v52, 19, v2
	v_cmp_gt_u32_e64 s0, 0x42, v22
	s_delay_alu instid0(VALU_DEP_3) | instskip(NEXT) | instid1(VALU_DEP_3)
	v_lshrrev_b16 v2, 1, v3
	v_mul_lo_u16 v3, v52, 11
	v_mul_u32_u24_e32 v52, 0xb0, v52
	s_delay_alu instid0(VALU_DEP_3) | instskip(NEXT) | instid1(VALU_DEP_3)
	v_and_b32_e32 v2, 0x7f, v2
	v_sub_nc_u16 v0, v0, v3
	s_delay_alu instid0(VALU_DEP_2) | instskip(NEXT) | instid1(VALU_DEP_2)
	v_add_nc_u16 v1, v2, v1
	v_and_b32_e32 v0, 0xffff, v0
	s_delay_alu instid0(VALU_DEP_2) | instskip(NEXT) | instid1(VALU_DEP_2)
	v_lshrrev_b16 v53, 3, v1
	v_lshlrev_b32_e32 v56, 3, v0
	s_delay_alu instid0(VALU_DEP_2) | instskip(SKIP_2) | instid1(VALU_DEP_1)
	v_mul_lo_u16 v0, v53, 11
	global_load_b64 v[12:13], v56, s[8:9]
	v_sub_nc_u16 v0, v22, v0
	v_and_b32_e32 v0, 0xff, v0
	s_delay_alu instid0(VALU_DEP_1) | instskip(SKIP_4) | instid1(VALU_DEP_3)
	v_lshlrev_b32_e32 v58, 3, v0
	global_load_b64 v[18:19], v58, s[8:9]
	v_add_nc_u32_e32 v38, 0xc6, v22
	v_add_nc_u32_e32 v37, 0x18c, v22
	v_and_b32_e32 v34, 0xffff, v23
	v_and_b32_e32 v40, 0xffff, v38
	s_delay_alu instid0(VALU_DEP_3) | instskip(NEXT) | instid1(VALU_DEP_3)
	v_and_b32_e32 v39, 0xffff, v37
	v_mul_u32_u24_e32 v42, 0xba2f, v34
	s_delay_alu instid0(VALU_DEP_3) | instskip(NEXT) | instid1(VALU_DEP_3)
	v_mul_u32_u24_e32 v41, 0xba2f, v40
	v_mul_u32_u24_e32 v43, 0xba2f, v39
	s_delay_alu instid0(VALU_DEP_3) | instskip(NEXT) | instid1(VALU_DEP_3)
	v_lshrrev_b32_e32 v57, 19, v42
	v_lshrrev_b32_e32 v54, 19, v41
	s_delay_alu instid0(VALU_DEP_3) | instskip(NEXT) | instid1(VALU_DEP_3)
	v_lshrrev_b32_e32 v55, 19, v43
	v_mul_lo_u16 v3, v57, 11
	v_mul_u32_u24_e32 v57, 0xb0, v57
	s_delay_alu instid0(VALU_DEP_4) | instskip(NEXT) | instid1(VALU_DEP_4)
	v_mul_lo_u16 v1, v54, 11
	v_mul_lo_u16 v2, v55, 11
	s_delay_alu instid0(VALU_DEP_4)
	v_sub_nc_u16 v3, v23, v3
	v_mul_u32_u24_e32 v54, 0xb0, v54
	v_mul_u32_u24_e32 v55, 0xb0, v55
	v_sub_nc_u16 v1, v38, v1
	v_sub_nc_u16 v2, v37, v2
	v_and_b32_e32 v0, 0xffff, v3
	s_delay_alu instid0(VALU_DEP_3) | instskip(NEXT) | instid1(VALU_DEP_3)
	v_and_b32_e32 v1, 0xffff, v1
	v_and_b32_e32 v2, 0xffff, v2
	s_delay_alu instid0(VALU_DEP_3) | instskip(SKIP_1) | instid1(VALU_DEP_4)
	v_lshlrev_b32_e32 v61, 3, v0
	v_add_nc_u32_e32 v0, 0x3000, v36
	v_lshlrev_b32_e32 v59, 3, v1
	s_delay_alu instid0(VALU_DEP_4)
	v_lshlrev_b32_e32 v60, 3, v2
	s_clause 0x2
	global_load_b64 v[32:33], v59, s[8:9]
	global_load_b64 v[48:49], v60, s[8:9]
	;; [unrolled: 1-line block ×3, first 2 shown]
	ds_load_2addr_b64 v[0:3], v0 offset0:48 offset1:246
	ds_load_2addr_b64 v[8:11], v8 offset0:24 offset1:222
	ds_load_2addr_b64 v[4:7], v36 offset1:198
	ds_load_2addr_b64 v[14:17], v14 offset0:36 offset1:234
	ds_load_2addr_b64 v[44:47], v44 offset0:12 offset1:210
	v_add3_u32 v54, 0, v54, v59
	v_and_b32_e32 v53, 0xffff, v53
	global_wb scope:SCOPE_SE
	s_wait_loadcnt_dscnt 0x0
	s_barrier_signal -1
	s_barrier_wait -1
	global_inv scope:SCOPE_SE
	v_mul_f32_e32 v59, v13, v3
	v_mul_f32_e32 v13, v13, v2
	s_delay_alu instid0(VALU_DEP_2) | instskip(SKIP_1) | instid1(VALU_DEP_3)
	v_fmac_f32_e32 v59, v12, v2
	v_mul_u32_u24_e32 v2, 0xb0, v53
	v_fma_f32 v3, v12, v3, -v13
	s_delay_alu instid0(VALU_DEP_3) | instskip(NEXT) | instid1(VALU_DEP_3)
	v_sub_f32_e32 v12, v8, v59
	v_add3_u32 v53, 0, v2, v58
	s_delay_alu instid0(VALU_DEP_3) | instskip(NEXT) | instid1(VALU_DEP_3)
	v_sub_f32_e32 v13, v9, v3
	v_fma_f32 v2, v8, 2.0, -v12
	v_mul_f32_e32 v3, v19, v11
	v_mul_f32_e32 v8, v19, v10
	s_delay_alu instid0(VALU_DEP_2) | instskip(NEXT) | instid1(VALU_DEP_2)
	v_fmac_f32_e32 v3, v18, v10
	v_fma_f32 v8, v18, v11, -v8
	v_mul_f32_e32 v19, v33, v15
	v_mul_f32_e32 v33, v33, v14
	v_add3_u32 v52, 0, v52, v56
	v_mul_f32_e32 v56, v49, v17
	v_dual_mul_f32 v49, v49, v16 :: v_dual_mul_f32 v58, v51, v1
	v_mul_f32_e32 v51, v51, v0
	v_fmac_f32_e32 v19, v32, v14
	v_fma_f32 v11, v32, v15, -v33
	v_fmac_f32_e32 v56, v48, v16
	v_fma_f32 v15, v48, v17, -v49
	;; [unrolled: 2-line block ×3, first 2 shown]
	v_sub_f32_e32 v0, v4, v3
	v_sub_f32_e32 v14, v44, v56
	;; [unrolled: 1-line block ×3, first 2 shown]
	v_dual_sub_f32 v10, v6, v19 :: v_dual_add_nc_u32 v63, 0x2800, v36
	v_sub_f32_e32 v11, v7, v11
	v_dual_sub_f32 v15, v45, v15 :: v_dual_sub_f32 v16, v46, v58
	v_sub_f32_e32 v17, v47, v17
	v_fma_f32 v4, v4, 2.0, -v0
	v_fma_f32 v5, v5, 2.0, -v1
	;; [unrolled: 1-line block ×4, first 2 shown]
	v_add3_u32 v55, 0, v55, v60
	v_fma_f32 v18, v44, 2.0, -v14
	v_fma_f32 v19, v45, 2.0, -v15
	v_add3_u32 v57, 0, v57, v61
	v_fma_f32 v32, v46, 2.0, -v16
	v_fma_f32 v33, v47, 2.0, -v17
	;; [unrolled: 1-line block ×3, first 2 shown]
	ds_store_2addr_b64 v53, v[4:5], v[0:1] offset1:11
	ds_store_2addr_b64 v54, v[6:7], v[10:11] offset1:11
	;; [unrolled: 1-line block ×5, first 2 shown]
	global_wb scope:SCOPE_SE
	s_wait_dscnt 0x0
	s_barrier_signal -1
	s_barrier_wait -1
	global_inv scope:SCOPE_SE
	ds_load_2addr_b64 v[0:3], v36 offset1:198
	ds_load_2addr_b64 v[8:11], v62 offset0:20 offset1:218
	ds_load_2addr_b64 v[4:7], v63 offset0:40 offset1:238
	ds_load_b64 v[18:19], v36 offset:3168
	ds_load_b64 v[16:17], v36 offset:8448
	;; [unrolled: 1-line block ×3, first 2 shown]
                                        ; implicit-def: $vgpr33
	s_and_saveexec_b32 s1, s0
	s_cbranch_execz .LBB0_23
; %bb.22:
	ds_load_b64 v[12:13], v36 offset:4752
	ds_load_b64 v[30:31], v36 offset:10032
	;; [unrolled: 1-line block ×3, first 2 shown]
.LBB0_23:
	s_wait_alu 0xfffe
	s_or_b32 exec_lo, exec_lo, s1
	v_lshrrev_b32_e32 v60, 20, v43
	v_lshrrev_b32_e32 v42, 20, v42
	v_lshrrev_b16 v45, 1, v22
	v_lshrrev_b32_e32 v41, 20, v41
	s_delay_alu instid0(VALU_DEP_4) | instskip(NEXT) | instid1(VALU_DEP_4)
	v_mul_lo_u16 v43, v60, 22
	v_mul_lo_u16 v44, v42, 22
	s_delay_alu instid0(VALU_DEP_4) | instskip(NEXT) | instid1(VALU_DEP_4)
	v_and_b32_e32 v45, 0x7f, v45
	v_mul_lo_u16 v53, v41, 22
	v_mul_u32_u24_e32 v60, 0x210, v60
	v_sub_nc_u16 v43, v37, v43
	v_sub_nc_u16 v44, v23, v44
	v_mul_lo_u16 v48, 0xbb, v45
	v_sub_nc_u16 v53, v38, v53
	v_mul_u32_u24_e32 v41, 0x210, v41
	v_and_b32_e32 v61, 0xffff, v43
	v_and_b32_e32 v43, 0xffff, v44
	v_lshrrev_b16 v62, 11, v48
	s_delay_alu instid0(VALU_DEP_3) | instskip(NEXT) | instid1(VALU_DEP_3)
	v_lshlrev_b32_e32 v44, 4, v61
	v_lshlrev_b32_e32 v49, 4, v43
	s_delay_alu instid0(VALU_DEP_3)
	v_mul_lo_u16 v52, v62, 22
	v_lshlrev_b32_e32 v61, 3, v61
	s_clause 0x1
	global_load_b128 v[44:47], v44, s[8:9] offset:88
	global_load_b128 v[48:51], v49, s[8:9] offset:88
	v_sub_nc_u16 v52, v22, v52
	v_and_b32_e32 v62, 0xffff, v62
	v_and_b32_e32 v64, 0xffff, v53
	v_add3_u32 v60, 0, v60, v61
	s_delay_alu instid0(VALU_DEP_4) | instskip(NEXT) | instid1(VALU_DEP_3)
	v_and_b32_e32 v63, 0xff, v52
	v_lshlrev_b32_e32 v56, 4, v64
	v_lshlrev_b32_e32 v64, 3, v64
	s_delay_alu instid0(VALU_DEP_3)
	v_lshlrev_b32_e32 v61, 3, v63
	s_wait_loadcnt_dscnt 0x0
	v_mul_f32_e32 v65, v33, v51
	v_mul_u32_u24_e32 v62, 0x210, v62
	v_mul_f32_e32 v51, v32, v51
	v_add3_u32 v41, 0, v41, v64
	v_mul_f32_e32 v64, v31, v49
	v_mul_f32_e32 v49, v30, v49
	v_add3_u32 v61, 0, v62, v61
	v_mul_f32_e32 v62, v45, v17
	v_mul_f32_e32 v45, v45, v16
	v_fmac_f32_e32 v64, v30, v48
	s_delay_alu instid0(VALU_DEP_3) | instskip(SKIP_1) | instid1(VALU_DEP_4)
	v_fmac_f32_e32 v62, v44, v16
	v_fmac_f32_e32 v65, v32, v50
	v_fma_f32 v16, v44, v17, -v45
	v_fma_f32 v17, v33, v50, -v51
	s_delay_alu instid0(VALU_DEP_4)
	v_add_f32_e32 v30, v18, v62
	v_lshlrev_b32_e32 v52, 4, v63
	v_mul_f32_e32 v63, v47, v15
	v_mul_f32_e32 v47, v47, v14
	s_clause 0x1
	global_load_b128 v[52:55], v52, s[8:9] offset:88
	global_load_b128 v[56:59], v56, s[8:9] offset:88
	v_fmac_f32_e32 v63, v46, v14
	v_fma_f32 v14, v46, v15, -v47
	v_add_f32_e32 v46, v64, v65
	v_fma_f32 v15, v31, v48, -v49
	s_delay_alu instid0(VALU_DEP_4) | instskip(SKIP_2) | instid1(VALU_DEP_4)
	v_dual_add_f32 v33, v19, v16 :: v_dual_sub_f32 v44, v62, v63
	v_dual_add_f32 v31, v62, v63 :: v_dual_sub_f32 v50, v64, v65
	v_add_f32_e32 v45, v12, v64
	v_dual_add_f32 v49, v15, v17 :: v_dual_add_f32 v30, v30, v63
	v_sub_f32_e32 v32, v16, v14
	v_dual_add_f32 v16, v16, v14 :: v_dual_sub_f32 v47, v15, v17
	v_add_f32_e32 v48, v13, v15
	v_fma_f32 v18, -0.5, v31, v18
	v_add_f32_e32 v31, v33, v14
	global_wb scope:SCOPE_SE
	s_wait_loadcnt 0x0
	s_barrier_signal -1
	s_barrier_wait -1
	global_inv scope:SCOPE_SE
	v_dual_fmac_f32 v12, -0.5, v46 :: v_dual_mul_f32 v51, v53, v9
	v_dual_mul_f32 v66, v59, v7 :: v_dual_mul_f32 v53, v53, v8
	v_mul_f32_e32 v62, v55, v5
	v_dual_mul_f32 v55, v55, v4 :: v_dual_add_f32 v14, v45, v65
	v_mul_f32_e32 v64, v57, v11
	s_delay_alu instid0(VALU_DEP_3)
	v_dual_mul_f32 v57, v57, v10 :: v_dual_fmac_f32 v62, v54, v4
	v_dual_mul_f32 v59, v59, v6 :: v_dual_fmamk_f32 v4, v32, 0xbf5db3d7, v18
	v_fmac_f32_e32 v13, -0.5, v49
	v_fmac_f32_e32 v51, v52, v8
	v_fma_f32 v8, v52, v9, -v53
	v_fma_f32 v9, v54, v5, -v55
	v_dual_fmac_f32 v19, -0.5, v16 :: v_dual_fmac_f32 v64, v56, v10
	v_dual_add_f32 v15, v48, v17 :: v_dual_fmac_f32 v66, v58, v6
	v_fma_f32 v10, v56, v11, -v57
	v_fma_f32 v11, v58, v7, -v59
	v_fmac_f32_e32 v18, 0x3f5db3d7, v32
	v_fmamk_f32 v16, v47, 0xbf5db3d7, v12
	v_dual_fmac_f32 v12, 0x3f5db3d7, v47 :: v_dual_fmamk_f32 v17, v50, 0x3f5db3d7, v13
	v_dual_sub_f32 v32, v8, v9 :: v_dual_add_f32 v7, v51, v62
	v_dual_add_f32 v33, v1, v8 :: v_dual_add_f32 v46, v64, v66
	v_dual_add_f32 v8, v8, v9 :: v_dual_add_f32 v45, v2, v64
	v_dual_add_f32 v48, v3, v10 :: v_dual_sub_f32 v47, v10, v11
	v_dual_add_f32 v10, v10, v11 :: v_dual_sub_f32 v49, v64, v66
	v_fmamk_f32 v5, v44, 0x3f5db3d7, v19
	v_dual_fmac_f32 v19, 0xbf5db3d7, v44 :: v_dual_add_f32 v6, v0, v51
	v_sub_f32_e32 v44, v51, v62
	v_fma_f32 v0, -0.5, v7, v0
	v_fma_f32 v1, -0.5, v8, v1
	v_fma_f32 v2, -0.5, v46, v2
	v_fmac_f32_e32 v3, -0.5, v10
	v_dual_add_f32 v6, v6, v62 :: v_dual_add_f32 v7, v33, v9
	v_dual_add_f32 v8, v45, v66 :: v_dual_add_f32 v9, v48, v11
	v_fmamk_f32 v10, v32, 0xbf5db3d7, v0
	v_dual_fmac_f32 v0, 0x3f5db3d7, v32 :: v_dual_fmamk_f32 v11, v44, 0x3f5db3d7, v1
	v_fmac_f32_e32 v13, 0xbf5db3d7, v50
	v_dual_fmac_f32 v1, 0xbf5db3d7, v44 :: v_dual_fmamk_f32 v32, v47, 0xbf5db3d7, v2
	v_dual_fmamk_f32 v33, v49, 0x3f5db3d7, v3 :: v_dual_fmac_f32 v2, 0x3f5db3d7, v47
	v_fmac_f32_e32 v3, 0xbf5db3d7, v49
	ds_store_2addr_b64 v61, v[6:7], v[10:11] offset1:22
	ds_store_b64 v61, v[0:1] offset:352
	ds_store_2addr_b64 v41, v[8:9], v[32:33] offset1:22
	ds_store_b64 v41, v[2:3] offset:352
	;; [unrolled: 2-line block ×3, first 2 shown]
	s_and_saveexec_b32 s1, s0
	s_cbranch_execz .LBB0_25
; %bb.24:
	v_mul_lo_u16 v0, 0x42, v42
	v_lshlrev_b32_e32 v1, 3, v43
	s_delay_alu instid0(VALU_DEP_2) | instskip(NEXT) | instid1(VALU_DEP_1)
	v_and_b32_e32 v0, 0xffff, v0
	v_lshlrev_b32_e32 v0, 3, v0
	s_delay_alu instid0(VALU_DEP_1)
	v_add3_u32 v0, 0, v1, v0
	ds_store_2addr_b64 v0, v[14:15], v[16:17] offset1:22
	ds_store_b64 v0, v[12:13] offset:352
.LBB0_25:
	s_wait_alu 0xfffe
	s_or_b32 exec_lo, exec_lo, s1
	v_add_nc_u32_e32 v4, 0x1400, v36
	v_add_nc_u32_e32 v5, 0x2800, v36
	global_wb scope:SCOPE_SE
	s_wait_dscnt 0x0
	s_barrier_signal -1
	s_barrier_wait -1
	global_inv scope:SCOPE_SE
	ds_load_2addr_b64 v[0:3], v36 offset1:198
	ds_load_2addr_b64 v[8:11], v4 offset0:20 offset1:218
	ds_load_2addr_b64 v[4:7], v5 offset0:40 offset1:238
	ds_load_b64 v[18:19], v36 offset:3168
	ds_load_b64 v[32:33], v36 offset:8448
	;; [unrolled: 1-line block ×3, first 2 shown]
	s_and_saveexec_b32 s1, s0
	s_cbranch_execz .LBB0_27
; %bb.26:
	ds_load_b64 v[14:15], v36 offset:4752
	ds_load_b64 v[16:17], v36 offset:10032
	;; [unrolled: 1-line block ×3, first 2 shown]
.LBB0_27:
	s_wait_alu 0xfffe
	s_or_b32 exec_lo, exec_lo, s1
	v_mul_lo_u16 v35, 0xf9, v35
	v_mul_u32_u24_e32 v40, 0xf83f, v40
	v_mul_u32_u24_e32 v39, 0xf83f, v39
	s_delay_alu instid0(VALU_DEP_3) | instskip(NEXT) | instid1(VALU_DEP_3)
	v_lshrrev_b16 v35, 14, v35
	v_lshrrev_b32_e32 v49, 22, v40
	s_delay_alu instid0(VALU_DEP_3) | instskip(NEXT) | instid1(VALU_DEP_3)
	v_lshrrev_b32_e32 v50, 22, v39
	v_mul_lo_u16 v40, 0x42, v35
	s_delay_alu instid0(VALU_DEP_3) | instskip(NEXT) | instid1(VALU_DEP_3)
	v_mul_lo_u16 v39, 0x42, v49
	v_mul_lo_u16 v41, 0x42, v50
	v_and_b32_e32 v35, 0xffff, v35
	v_mul_u32_u24_e32 v49, 0x630, v49
	v_sub_nc_u16 v40, v22, v40
	v_sub_nc_u16 v38, v38, v39
	;; [unrolled: 1-line block ×3, first 2 shown]
	v_mul_u32_u24_e32 v35, 0x630, v35
	v_mul_u32_u24_e32 v50, 0x630, v50
	v_and_b32_e32 v51, 0xff, v40
	v_and_b32_e32 v52, 0xffff, v38
	;; [unrolled: 1-line block ×3, first 2 shown]
	s_delay_alu instid0(VALU_DEP_3) | instskip(NEXT) | instid1(VALU_DEP_3)
	v_lshlrev_b32_e32 v38, 4, v51
	v_lshlrev_b32_e32 v41, 4, v52
	;; [unrolled: 1-line block ×3, first 2 shown]
	global_load_b128 v[37:40], v38, s[8:9] offset:440
	v_add3_u32 v49, 0, v49, v52
	s_wait_loadcnt_dscnt 0x3
	v_dual_mul_f32 v52, v40, v5 :: v_dual_lshlrev_b32 v51, 3, v51
	v_mul_f32_e32 v40, v40, v4
	s_delay_alu instid0(VALU_DEP_2)
	v_add3_u32 v35, 0, v35, v51
	v_mul_f32_e32 v51, v38, v9
	v_dual_mul_f32 v38, v38, v8 :: v_dual_lshlrev_b32 v45, 4, v53
	s_clause 0x1
	global_load_b128 v[41:44], v41, s[8:9] offset:440
	global_load_b128 v[45:48], v45, s[8:9] offset:440
	v_lshlrev_b32_e32 v53, 3, v53
	v_fma_f32 v5, v39, v5, -v40
	global_wb scope:SCOPE_SE
	s_wait_loadcnt_dscnt 0x0
	s_barrier_signal -1
	s_barrier_wait -1
	global_inv scope:SCOPE_SE
	v_fmac_f32_e32 v51, v37, v8
	v_fma_f32 v8, v37, v9, -v38
	v_mul_f32_e32 v54, v44, v7
	v_add3_u32 v50, 0, v50, v53
	v_mul_f32_e32 v53, v42, v11
	v_mul_f32_e32 v42, v42, v10
	v_dual_mul_f32 v44, v44, v6 :: v_dual_mul_f32 v55, v46, v33
	v_mul_f32_e32 v46, v46, v32
	v_mul_f32_e32 v56, v48, v31
	;; [unrolled: 1-line block ×3, first 2 shown]
	v_dual_fmac_f32 v52, v39, v4 :: v_dual_fmac_f32 v53, v41, v10
	v_fma_f32 v4, v41, v11, -v42
	v_fmac_f32_e32 v54, v43, v6
	v_fma_f32 v7, v43, v7, -v44
	v_fmac_f32_e32 v55, v45, v32
	v_fma_f32 v6, v45, v33, -v46
	v_dual_fmac_f32 v56, v47, v30 :: v_dual_add_f32 v33, v2, v53
	v_fma_f32 v9, v47, v31, -v48
	v_dual_add_f32 v10, v0, v51 :: v_dual_add_f32 v11, v51, v52
	v_dual_add_f32 v31, v1, v8 :: v_dual_sub_f32 v30, v8, v5
	v_dual_add_f32 v37, v53, v54 :: v_dual_add_f32 v8, v8, v5
	v_dual_add_f32 v39, v3, v4 :: v_dual_add_f32 v40, v4, v7
	v_dual_add_f32 v45, v19, v6 :: v_dual_sub_f32 v38, v4, v7
	v_dual_add_f32 v43, v55, v56 :: v_dual_add_f32 v46, v6, v9
	s_delay_alu instid0(VALU_DEP_3)
	v_fmac_f32_e32 v3, -0.5, v40
	v_dual_sub_f32 v32, v51, v52 :: v_dual_sub_f32 v41, v53, v54
	v_fma_f32 v0, -0.5, v11, v0
	v_fma_f32 v1, -0.5, v8, v1
	v_fma_f32 v2, -0.5, v37, v2
	v_dual_add_f32 v42, v18, v55 :: v_dual_sub_f32 v47, v55, v56
	v_dual_sub_f32 v44, v6, v9 :: v_dual_add_f32 v7, v39, v7
	v_fma_f32 v18, -0.5, v43, v18
	v_dual_fmac_f32 v19, -0.5, v46 :: v_dual_add_f32 v4, v10, v52
	v_dual_add_f32 v5, v31, v5 :: v_dual_add_f32 v6, v33, v54
	v_fmamk_f32 v11, v32, 0x3f5db3d7, v1
	v_fmamk_f32 v10, v30, 0xbf5db3d7, v0
	v_dual_fmac_f32 v0, 0x3f5db3d7, v30 :: v_dual_fmamk_f32 v31, v41, 0x3f5db3d7, v3
	v_dual_fmac_f32 v1, 0xbf5db3d7, v32 :: v_dual_fmamk_f32 v30, v38, 0xbf5db3d7, v2
	;; [unrolled: 1-line block ×4, first 2 shown]
	v_dual_add_f32 v8, v42, v56 :: v_dual_add_f32 v9, v45, v9
	v_fmac_f32_e32 v18, 0x3f5db3d7, v44
	v_fmac_f32_e32 v19, 0xbf5db3d7, v47
	ds_store_2addr_b64 v35, v[4:5], v[10:11] offset1:66
	ds_store_b64 v35, v[0:1] offset:1056
	ds_store_2addr_b64 v49, v[6:7], v[30:31] offset1:66
	ds_store_b64 v49, v[2:3] offset:1056
	;; [unrolled: 2-line block ×3, first 2 shown]
	s_and_saveexec_b32 s1, s0
	s_cbranch_execz .LBB0_29
; %bb.28:
	v_mul_u32_u24_e32 v0, 0xf83f, v34
	s_delay_alu instid0(VALU_DEP_1) | instskip(NEXT) | instid1(VALU_DEP_1)
	v_lshrrev_b32_e32 v0, 22, v0
	v_mul_lo_u16 v0, 0x42, v0
	s_delay_alu instid0(VALU_DEP_1) | instskip(NEXT) | instid1(VALU_DEP_1)
	v_sub_nc_u16 v0, v23, v0
	v_and_b32_e32 v4, 0xffff, v0
	s_delay_alu instid0(VALU_DEP_1)
	v_lshlrev_b32_e32 v0, 4, v4
	global_load_b128 v[0:3], v0, s[8:9] offset:440
	s_wait_loadcnt 0x0
	v_mul_f32_e32 v5, v16, v1
	v_dual_mul_f32 v1, v17, v1 :: v_dual_mul_f32 v6, v12, v3
	v_lshl_add_u32 v8, v4, 3, 0
	v_mul_f32_e32 v7, v13, v3
	s_delay_alu instid0(VALU_DEP_4) | instskip(NEXT) | instid1(VALU_DEP_4)
	v_fma_f32 v3, v17, v0, -v5
	v_fma_f32 v4, v13, v2, -v6
	s_delay_alu instid0(VALU_DEP_3) | instskip(SKIP_1) | instid1(VALU_DEP_4)
	v_dual_fmac_f32 v7, v12, v2 :: v_dual_add_nc_u32 v6, 0x3400, v8
	v_fmac_f32_e32 v1, v16, v0
	v_add_f32_e32 v5, v15, v3
	s_delay_alu instid0(VALU_DEP_4) | instskip(SKIP_1) | instid1(VALU_DEP_4)
	v_add_f32_e32 v0, v3, v4
	v_sub_f32_e32 v11, v3, v4
	v_dual_sub_f32 v9, v1, v7 :: v_dual_add_f32 v10, v14, v1
	v_add_f32_e32 v2, v1, v7
	s_delay_alu instid0(VALU_DEP_4) | instskip(SKIP_1) | instid1(VALU_DEP_2)
	v_fma_f32 v1, -0.5, v0, v15
	v_add_f32_e32 v3, v5, v4
	v_fmamk_f32 v5, v9, 0xbf5db3d7, v1
	v_fmac_f32_e32 v1, 0x3f5db3d7, v9
	v_fma_f32 v0, -0.5, v2, v14
	v_add_f32_e32 v2, v10, v7
	s_delay_alu instid0(VALU_DEP_2)
	v_fmamk_f32 v4, v11, 0x3f5db3d7, v0
	v_fmac_f32_e32 v0, 0xbf5db3d7, v11
	ds_store_2addr_b64 v6, v[2:3], v[0:1] offset0:118 offset1:184
	ds_store_b64 v8, v[4:5] offset:15312
.LBB0_29:
	s_wait_alu 0xfffe
	s_or_b32 exec_lo, exec_lo, s1
	v_dual_mov_b32 v1, 0 :: v_dual_lshlrev_b32 v0, 2, v22
	global_wb scope:SCOPE_SE
	s_wait_dscnt 0x0
	s_barrier_signal -1
	s_barrier_wait -1
	global_inv scope:SCOPE_SE
	v_lshlrev_b64_e32 v[2:3], 3, v[0:1]
	s_delay_alu instid0(VALU_DEP_1) | instskip(SKIP_1) | instid1(VALU_DEP_2)
	v_add_co_u32 v2, s0, s8, v2
	s_wait_alu 0xf1ff
	v_add_co_ci_u32_e64 v3, s0, s9, v3, s0
	v_add_co_u32 v17, s0, s8, v26
	s_clause 0x1
	global_load_b128 v[5:8], v[2:3], off offset:1496
	global_load_b128 v[9:12], v[2:3], off offset:1512
	v_add_nc_u32_e32 v0, 0xc00, v36
	v_add_nc_u32_e32 v4, 0x2400, v36
	;; [unrolled: 1-line block ×3, first 2 shown]
	s_wait_alu 0xf1ff
	v_add_co_ci_u32_e64 v18, s0, s9, v27, s0
	ds_load_2addr_b64 v[13:16], v0 offset0:12 offset1:210
	v_add_nc_u32_e32 v2, 0x1800, v36
	v_add_co_u32 v26, s0, s8, v28
	s_wait_alu 0xf1ff
	v_add_co_ci_u32_e64 v27, s0, s9, v29, s0
	s_wait_loadcnt_dscnt 0x100
	v_mul_f32_e32 v23, v6, v13
	ds_load_2addr_b64 v[30:33], v2 offset0:24 offset1:222
	ds_load_2addr_b64 v[37:40], v4 offset0:36 offset1:234
	;; [unrolled: 1-line block ×3, first 2 shown]
	ds_load_2addr_b64 v[45:48], v36 offset1:198
	v_mul_f32_e32 v19, v6, v14
	global_wb scope:SCOPE_SE
	s_wait_loadcnt_dscnt 0x0
	s_barrier_signal -1
	s_barrier_wait -1
	global_inv scope:SCOPE_SE
	v_fmac_f32_e32 v19, v5, v13
	v_fma_f32 v13, v5, v14, -v23
	v_mul_f32_e32 v51, v6, v16
	v_mul_f32_e32 v6, v6, v15
	s_delay_alu instid0(VALU_DEP_2) | instskip(NEXT) | instid1(VALU_DEP_2)
	v_fmac_f32_e32 v51, v5, v15
	v_fma_f32 v5, v5, v16, -v6
	v_mul_f32_e32 v29, v8, v30
	v_dual_mul_f32 v35, v10, v37 :: v_dual_mul_f32 v52, v33, v8
	v_mul_f32_e32 v28, v8, v31
	v_mul_f32_e32 v34, v10, v38
	s_delay_alu instid0(VALU_DEP_4) | instskip(NEXT) | instid1(VALU_DEP_4)
	v_fma_f32 v14, v7, v31, -v29
	v_fma_f32 v23, v9, v38, -v35
	v_mul_f32_e32 v49, v12, v42
	v_mul_f32_e32 v50, v12, v41
	;; [unrolled: 1-line block ×7, first 2 shown]
	v_dual_fmac_f32 v28, v7, v30 :: v_dual_sub_f32 v35, v14, v23
	v_fmac_f32_e32 v34, v9, v37
	v_fmac_f32_e32 v49, v11, v41
	v_fma_f32 v31, v11, v42, -v50
	v_fma_f32 v15, v33, v7, -v8
	v_fmac_f32_e32 v53, v39, v9
	v_fma_f32 v16, v40, v9, -v10
	v_fmac_f32_e32 v54, v43, v11
	v_fma_f32 v33, v44, v11, -v12
	v_sub_f32_e32 v11, v28, v19
	v_dual_fmac_f32 v52, v32, v7 :: v_dual_sub_f32 v9, v49, v34
	v_dual_add_f32 v7, v28, v34 :: v_dual_add_f32 v6, v45, v19
	v_dual_add_f32 v29, v46, v13 :: v_dual_sub_f32 v32, v13, v31
	v_dual_add_f32 v10, v19, v49 :: v_dual_sub_f32 v59, v53, v54
	v_dual_sub_f32 v12, v34, v49 :: v_dual_sub_f32 v39, v31, v23
	v_dual_add_f32 v30, v14, v23 :: v_dual_add_f32 v43, v52, v53
	v_dual_sub_f32 v38, v13, v14 :: v_dual_sub_f32 v41, v23, v31
	v_sub_f32_e32 v44, v5, v33
	v_dual_add_f32 v42, v47, v51 :: v_dual_add_f32 v65, v5, v33
	v_dual_sub_f32 v50, v15, v16 :: v_dual_sub_f32 v63, v5, v15
	v_add_f32_e32 v60, v48, v5
	v_sub_f32_e32 v66, v15, v5
	v_fma_f32 v5, -0.5, v7, v45
	v_dual_sub_f32 v8, v19, v28 :: v_dual_sub_f32 v37, v28, v34
	v_dual_add_f32 v40, v13, v31 :: v_dual_sub_f32 v55, v51, v52
	v_dual_sub_f32 v56, v54, v53 :: v_dual_add_f32 v57, v51, v54
	v_dual_sub_f32 v58, v52, v51 :: v_dual_add_f32 v61, v15, v16
	v_sub_f32_e32 v19, v19, v49
	v_sub_f32_e32 v13, v14, v13
	v_dual_sub_f32 v51, v51, v54 :: v_dual_sub_f32 v62, v52, v53
	v_dual_sub_f32 v64, v33, v16 :: v_dual_sub_f32 v67, v16, v33
	v_add_f32_e32 v28, v6, v28
	v_fma_f32 v7, -0.5, v10, v45
	v_dual_add_f32 v45, v11, v12 :: v_dual_add_f32 v12, v29, v14
	v_fma_f32 v6, -0.5, v30, v46
	v_dual_add_f32 v38, v38, v39 :: v_dual_fmamk_f32 v11, v32, 0xbf737871, v5
	v_dual_add_f32 v30, v60, v15 :: v_dual_fmac_f32 v5, 0x3f737871, v32
	v_add_f32_e32 v68, v8, v9
	v_fma_f32 v8, -0.5, v40, v46
	v_add_f32_e32 v29, v42, v52
	v_fma_f32 v9, -0.5, v43, v47
	v_fma_f32 v47, -0.5, v57, v47
	;; [unrolled: 1-line block ×3, first 2 shown]
	v_fmac_f32_e32 v48, -0.5, v65
	v_add_f32_e32 v39, v13, v41
	v_fmamk_f32 v13, v35, 0x3f737871, v7
	v_dual_add_f32 v40, v55, v56 :: v_dual_fmac_f32 v7, 0xbf737871, v35
	v_dual_add_f32 v43, v66, v67 :: v_dual_add_f32 v42, v63, v64
	v_dual_add_f32 v23, v12, v23 :: v_dual_add_f32 v52, v30, v16
	v_fmac_f32_e32 v11, 0xbf167918, v35
	v_fmamk_f32 v12, v19, 0x3f737871, v6
	v_fmamk_f32 v14, v37, 0xbf737871, v8
	s_delay_alu instid0(VALU_DEP_4)
	v_dual_fmac_f32 v8, 0x3f737871, v37 :: v_dual_add_f32 v31, v23, v31
	v_add_f32_e32 v34, v28, v34
	v_dual_fmac_f32 v6, 0xbf737871, v19 :: v_dual_fmamk_f32 v15, v44, 0xbf737871, v9
	v_dual_add_f32 v46, v29, v53 :: v_dual_fmamk_f32 v29, v62, 0xbf737871, v48
	v_fmac_f32_e32 v9, 0x3f737871, v44
	v_fmamk_f32 v28, v50, 0x3f737871, v47
	v_fmamk_f32 v16, v51, 0x3f737871, v10
	v_dual_fmac_f32 v47, 0xbf737871, v50 :: v_dual_fmac_f32 v10, 0xbf737871, v51
	v_dual_fmac_f32 v48, 0x3f737871, v62 :: v_dual_add_f32 v33, v52, v33
	v_dual_fmac_f32 v7, 0x3f167918, v32 :: v_dual_fmac_f32 v12, 0x3f167918, v37
	v_dual_fmac_f32 v13, 0xbf167918, v32 :: v_dual_fmac_f32 v6, 0xbf167918, v37
	;; [unrolled: 1-line block ×4, first 2 shown]
	v_dual_add_f32 v30, v34, v49 :: v_dual_fmac_f32 v5, 0x3f167918, v35
	v_dual_add_f32 v41, v58, v59 :: v_dual_fmac_f32 v28, 0xbf167918, v44
	v_dual_fmac_f32 v16, 0x3f167918, v62 :: v_dual_fmac_f32 v29, 0x3f167918, v51
	v_dual_add_f32 v32, v46, v54 :: v_dual_fmac_f32 v47, 0x3f167918, v44
	v_fmac_f32_e32 v10, 0xbf167918, v62
	v_fmac_f32_e32 v48, 0xbf167918, v51
	v_dual_fmac_f32 v11, 0x3e9e377a, v68 :: v_dual_fmac_f32 v12, 0x3e9e377a, v38
	v_dual_fmac_f32 v13, 0x3e9e377a, v45 :: v_dual_fmac_f32 v14, 0x3e9e377a, v39
	;; [unrolled: 1-line block ×6, first 2 shown]
	v_fmac_f32_e32 v29, 0x3e9e377a, v43
	v_dual_fmac_f32 v47, 0x3e9e377a, v41 :: v_dual_fmac_f32 v10, 0x3e9e377a, v42
	v_fmac_f32_e32 v48, 0x3e9e377a, v43
	ds_store_2addr_b64 v36, v[30:31], v[11:12] offset1:198
	ds_store_2addr_b64 v0, v[13:14], v[7:8] offset0:12 offset1:210
	ds_store_2addr_b64 v2, v[5:6], v[32:33] offset0:24 offset1:222
	;; [unrolled: 1-line block ×4, first 2 shown]
	global_wb scope:SCOPE_SE
	s_wait_dscnt 0x0
	s_barrier_signal -1
	s_barrier_wait -1
	global_inv scope:SCOPE_SE
	s_clause 0x4
	global_load_b64 v[17:18], v[17:18], off offset:7832
	global_load_b64 v[34:35], v[26:27], off offset:9416
	global_load_b64 v[37:38], v[26:27], off offset:11000
	global_load_b64 v[39:40], v[26:27], off offset:12584
	global_load_b64 v[41:42], v[26:27], off offset:14168
	ds_load_2addr_b64 v[5:8], v2 offset0:24 offset1:222
	ds_load_2addr_b64 v[9:12], v4 offset0:36 offset1:234
	ds_load_2addr_b64 v[13:16], v3 offset0:48 offset1:246
	ds_load_2addr_b64 v[26:29], v36 offset1:198
	ds_load_2addr_b64 v[30:33], v0 offset0:12 offset1:210
	global_wb scope:SCOPE_SE
	s_wait_loadcnt_dscnt 0x0
	s_barrier_signal -1
	s_barrier_wait -1
	global_inv scope:SCOPE_SE
	v_mul_f32_e32 v19, v18, v8
	v_mul_f32_e32 v23, v35, v10
	v_dual_mul_f32 v35, v35, v9 :: v_dual_mul_f32 v44, v40, v14
	v_mul_f32_e32 v45, v42, v16
	v_mul_f32_e32 v43, v38, v12
	;; [unrolled: 1-line block ×4, first 2 shown]
	s_delay_alu instid0(VALU_DEP_4)
	v_dual_fmac_f32 v44, v39, v13 :: v_dual_fmac_f32 v45, v41, v15
	v_mul_f32_e32 v18, v18, v7
	v_mul_f32_e32 v42, v42, v15
	v_fmac_f32_e32 v19, v17, v7
	v_fmac_f32_e32 v23, v34, v9
	v_sub_f32_e32 v15, v5, v45
	v_fma_f32 v8, v17, v8, -v18
	v_fma_f32 v10, v34, v10, -v35
	v_fmac_f32_e32 v43, v37, v11
	v_fma_f32 v12, v37, v12, -v38
	v_fma_f32 v14, v39, v14, -v40
	;; [unrolled: 1-line block ×3, first 2 shown]
	v_dual_sub_f32 v7, v26, v19 :: v_dual_sub_f32 v8, v27, v8
	v_dual_sub_f32 v9, v28, v23 :: v_dual_sub_f32 v10, v29, v10
	;; [unrolled: 1-line block ×4, first 2 shown]
	v_sub_f32_e32 v16, v6, v16
	v_fma_f32 v17, v26, 2.0, -v7
	v_fma_f32 v18, v27, 2.0, -v8
	;; [unrolled: 1-line block ×10, first 2 shown]
	ds_store_2addr_b64 v4, v[9:10], v[11:12] offset0:36 offset1:234
	ds_store_2addr_b64 v3, v[13:14], v[15:16] offset0:48 offset1:246
	ds_store_2addr_b64 v36, v[17:18], v[26:27] offset1:198
	ds_store_2addr_b64 v0, v[28:29], v[30:31] offset0:12 offset1:210
	ds_store_2addr_b64 v2, v[5:6], v[7:8] offset0:24 offset1:222
	global_wb scope:SCOPE_SE
	s_wait_dscnt 0x0
	s_barrier_signal -1
	s_barrier_wait -1
	global_inv scope:SCOPE_SE
	s_and_saveexec_b32 s0, vcc_lo
	s_cbranch_execz .LBB0_31
; %bb.30:
	v_mul_lo_u32 v0, s3, v24
	v_mul_lo_u32 v2, s2, v25
	v_mad_co_u64_u32 v[6:7], null, s2, v24, 0
	v_lshl_add_u32 v24, v22, 3, 0
	v_mov_b32_e32 v23, v1
	v_lshlrev_b64_e32 v[10:11], 3, v[20:21]
	s_delay_alu instid0(VALU_DEP_3)
	v_add_nc_u32_e32 v8, 0xc00, v24
	v_add3_u32 v7, v7, v2, v0
	v_add_nc_u32_e32 v0, 0xc6, v22
	v_lshlrev_b64_e32 v[14:15], 3, v[22:23]
	ds_load_2addr_b64 v[2:5], v24 offset1:198
	v_add_nc_u32_e32 v20, 0x1800, v24
	v_lshlrev_b64_e32 v[12:13], 3, v[6:7]
	v_lshlrev_b64_e32 v[16:17], 3, v[0:1]
	v_add_nc_u32_e32 v0, 0x18c, v22
	ds_load_2addr_b64 v[6:9], v8 offset0:12 offset1:210
	v_add_co_u32 v18, vcc_lo, s6, v12
	s_wait_alu 0xfffd
	v_add_co_ci_u32_e32 v19, vcc_lo, s7, v13, vcc_lo
	v_lshlrev_b64_e32 v[12:13], 3, v[0:1]
	s_delay_alu instid0(VALU_DEP_3) | instskip(SKIP_1) | instid1(VALU_DEP_3)
	v_add_co_u32 v25, vcc_lo, v18, v10
	s_wait_alu 0xfffd
	v_add_co_ci_u32_e32 v26, vcc_lo, v19, v11, vcc_lo
	v_add_nc_u32_e32 v0, 0x252, v22
	s_delay_alu instid0(VALU_DEP_3) | instskip(SKIP_1) | instid1(VALU_DEP_3)
	v_add_co_u32 v10, vcc_lo, v25, v14
	s_wait_alu 0xfffd
	v_add_co_ci_u32_e32 v11, vcc_lo, v26, v15, vcc_lo
	v_add_co_u32 v14, vcc_lo, v25, v16
	s_wait_alu 0xfffd
	v_add_co_ci_u32_e32 v15, vcc_lo, v26, v17, vcc_lo
	v_lshlrev_b64_e32 v[16:17], 3, v[0:1]
	v_add_nc_u32_e32 v0, 0x318, v22
	v_add_co_u32 v12, vcc_lo, v25, v12
	s_wait_alu 0xfffd
	v_add_co_ci_u32_e32 v13, vcc_lo, v26, v13, vcc_lo
	s_delay_alu instid0(VALU_DEP_3)
	v_lshlrev_b64_e32 v[18:19], 3, v[0:1]
	v_add_nc_u32_e32 v0, 0x3de, v22
	v_add_co_u32 v16, vcc_lo, v25, v16
	s_wait_alu 0xfffd
	v_add_co_ci_u32_e32 v17, vcc_lo, v26, v17, vcc_lo
	s_wait_dscnt 0x1
	s_clause 0x1
	global_store_b64 v[10:11], v[2:3], off
	global_store_b64 v[14:15], v[4:5], off
	s_wait_dscnt 0x0
	s_clause 0x1
	global_store_b64 v[12:13], v[6:7], off
	global_store_b64 v[16:17], v[8:9], off
	v_lshlrev_b64_e32 v[6:7], 3, v[0:1]
	v_add_nc_u32_e32 v0, 0x4a4, v22
	v_add_co_u32 v14, vcc_lo, v25, v18
	v_add_nc_u32_e32 v8, 0x2400, v24
	s_wait_alu 0xfffd
	v_add_co_ci_u32_e32 v15, vcc_lo, v26, v19, vcc_lo
	v_lshlrev_b64_e32 v[10:11], 3, v[0:1]
	v_add_nc_u32_e32 v0, 0x56a, v22
	v_add_co_u32 v16, vcc_lo, v25, v6
	v_add_nc_u32_e32 v12, 0x3000, v24
	ds_load_2addr_b64 v[2:5], v20 offset0:24 offset1:222
	s_wait_alu 0xfffd
	v_add_co_ci_u32_e32 v17, vcc_lo, v26, v7, vcc_lo
	ds_load_2addr_b64 v[6:9], v8 offset0:36 offset1:234
	v_lshlrev_b64_e32 v[18:19], 3, v[0:1]
	v_add_nc_u32_e32 v0, 0x630, v22
	v_add_co_u32 v20, vcc_lo, v25, v10
	s_wait_alu 0xfffd
	v_add_co_ci_u32_e32 v21, vcc_lo, v26, v11, vcc_lo
	ds_load_2addr_b64 v[10:13], v12 offset0:48 offset1:246
	v_lshlrev_b64_e32 v[23:24], 3, v[0:1]
	v_add_nc_u32_e32 v0, 0x6f6, v22
	v_add_co_u32 v18, vcc_lo, v25, v18
	s_wait_alu 0xfffd
	v_add_co_ci_u32_e32 v19, vcc_lo, v26, v19, vcc_lo
	s_delay_alu instid0(VALU_DEP_3) | instskip(SKIP_3) | instid1(VALU_DEP_3)
	v_lshlrev_b64_e32 v[0:1], 3, v[0:1]
	v_add_co_u32 v22, vcc_lo, v25, v23
	s_wait_alu 0xfffd
	v_add_co_ci_u32_e32 v23, vcc_lo, v26, v24, vcc_lo
	v_add_co_u32 v0, vcc_lo, v25, v0
	s_wait_alu 0xfffd
	v_add_co_ci_u32_e32 v1, vcc_lo, v26, v1, vcc_lo
	s_wait_dscnt 0x2
	s_clause 0x1
	global_store_b64 v[14:15], v[2:3], off
	global_store_b64 v[16:17], v[4:5], off
	s_wait_dscnt 0x1
	s_clause 0x1
	global_store_b64 v[20:21], v[6:7], off
	global_store_b64 v[18:19], v[8:9], off
	;; [unrolled: 4-line block ×3, first 2 shown]
.LBB0_31:
	s_nop 0
	s_sendmsg sendmsg(MSG_DEALLOC_VGPRS)
	s_endpgm
	.section	.rodata,"a",@progbits
	.p2align	6, 0x0
	.amdhsa_kernel fft_rtc_back_len1980_factors_11_2_3_3_5_2_wgs_198_tpt_198_halfLds_sp_op_CI_CI_unitstride_sbrr_C2R_dirReg
		.amdhsa_group_segment_fixed_size 0
		.amdhsa_private_segment_fixed_size 0
		.amdhsa_kernarg_size 104
		.amdhsa_user_sgpr_count 2
		.amdhsa_user_sgpr_dispatch_ptr 0
		.amdhsa_user_sgpr_queue_ptr 0
		.amdhsa_user_sgpr_kernarg_segment_ptr 1
		.amdhsa_user_sgpr_dispatch_id 0
		.amdhsa_user_sgpr_private_segment_size 0
		.amdhsa_wavefront_size32 1
		.amdhsa_uses_dynamic_stack 0
		.amdhsa_enable_private_segment 0
		.amdhsa_system_sgpr_workgroup_id_x 1
		.amdhsa_system_sgpr_workgroup_id_y 0
		.amdhsa_system_sgpr_workgroup_id_z 0
		.amdhsa_system_sgpr_workgroup_info 0
		.amdhsa_system_vgpr_workitem_id 0
		.amdhsa_next_free_vgpr 98
		.amdhsa_next_free_sgpr 39
		.amdhsa_reserve_vcc 1
		.amdhsa_float_round_mode_32 0
		.amdhsa_float_round_mode_16_64 0
		.amdhsa_float_denorm_mode_32 3
		.amdhsa_float_denorm_mode_16_64 3
		.amdhsa_fp16_overflow 0
		.amdhsa_workgroup_processor_mode 1
		.amdhsa_memory_ordered 1
		.amdhsa_forward_progress 0
		.amdhsa_round_robin_scheduling 0
		.amdhsa_exception_fp_ieee_invalid_op 0
		.amdhsa_exception_fp_denorm_src 0
		.amdhsa_exception_fp_ieee_div_zero 0
		.amdhsa_exception_fp_ieee_overflow 0
		.amdhsa_exception_fp_ieee_underflow 0
		.amdhsa_exception_fp_ieee_inexact 0
		.amdhsa_exception_int_div_zero 0
	.end_amdhsa_kernel
	.text
.Lfunc_end0:
	.size	fft_rtc_back_len1980_factors_11_2_3_3_5_2_wgs_198_tpt_198_halfLds_sp_op_CI_CI_unitstride_sbrr_C2R_dirReg, .Lfunc_end0-fft_rtc_back_len1980_factors_11_2_3_3_5_2_wgs_198_tpt_198_halfLds_sp_op_CI_CI_unitstride_sbrr_C2R_dirReg
                                        ; -- End function
	.section	.AMDGPU.csdata,"",@progbits
; Kernel info:
; codeLenInByte = 10344
; NumSgprs: 41
; NumVgprs: 98
; ScratchSize: 0
; MemoryBound: 0
; FloatMode: 240
; IeeeMode: 1
; LDSByteSize: 0 bytes/workgroup (compile time only)
; SGPRBlocks: 5
; VGPRBlocks: 12
; NumSGPRsForWavesPerEU: 41
; NumVGPRsForWavesPerEU: 98
; Occupancy: 12
; WaveLimiterHint : 1
; COMPUTE_PGM_RSRC2:SCRATCH_EN: 0
; COMPUTE_PGM_RSRC2:USER_SGPR: 2
; COMPUTE_PGM_RSRC2:TRAP_HANDLER: 0
; COMPUTE_PGM_RSRC2:TGID_X_EN: 1
; COMPUTE_PGM_RSRC2:TGID_Y_EN: 0
; COMPUTE_PGM_RSRC2:TGID_Z_EN: 0
; COMPUTE_PGM_RSRC2:TIDIG_COMP_CNT: 0
	.text
	.p2alignl 7, 3214868480
	.fill 96, 4, 3214868480
	.type	__hip_cuid_5410d7bad6f285ae,@object ; @__hip_cuid_5410d7bad6f285ae
	.section	.bss,"aw",@nobits
	.globl	__hip_cuid_5410d7bad6f285ae
__hip_cuid_5410d7bad6f285ae:
	.byte	0                               ; 0x0
	.size	__hip_cuid_5410d7bad6f285ae, 1

	.ident	"AMD clang version 19.0.0git (https://github.com/RadeonOpenCompute/llvm-project roc-6.4.0 25133 c7fe45cf4b819c5991fe208aaa96edf142730f1d)"
	.section	".note.GNU-stack","",@progbits
	.addrsig
	.addrsig_sym __hip_cuid_5410d7bad6f285ae
	.amdgpu_metadata
---
amdhsa.kernels:
  - .args:
      - .actual_access:  read_only
        .address_space:  global
        .offset:         0
        .size:           8
        .value_kind:     global_buffer
      - .offset:         8
        .size:           8
        .value_kind:     by_value
      - .actual_access:  read_only
        .address_space:  global
        .offset:         16
        .size:           8
        .value_kind:     global_buffer
      - .actual_access:  read_only
        .address_space:  global
        .offset:         24
        .size:           8
        .value_kind:     global_buffer
      - .actual_access:  read_only
        .address_space:  global
        .offset:         32
        .size:           8
        .value_kind:     global_buffer
      - .offset:         40
        .size:           8
        .value_kind:     by_value
      - .actual_access:  read_only
        .address_space:  global
        .offset:         48
        .size:           8
        .value_kind:     global_buffer
      - .actual_access:  read_only
        .address_space:  global
        .offset:         56
        .size:           8
        .value_kind:     global_buffer
      - .offset:         64
        .size:           4
        .value_kind:     by_value
      - .actual_access:  read_only
        .address_space:  global
        .offset:         72
        .size:           8
        .value_kind:     global_buffer
      - .actual_access:  read_only
        .address_space:  global
        .offset:         80
        .size:           8
        .value_kind:     global_buffer
      - .actual_access:  read_only
        .address_space:  global
        .offset:         88
        .size:           8
        .value_kind:     global_buffer
      - .actual_access:  write_only
        .address_space:  global
        .offset:         96
        .size:           8
        .value_kind:     global_buffer
    .group_segment_fixed_size: 0
    .kernarg_segment_align: 8
    .kernarg_segment_size: 104
    .language:       OpenCL C
    .language_version:
      - 2
      - 0
    .max_flat_workgroup_size: 198
    .name:           fft_rtc_back_len1980_factors_11_2_3_3_5_2_wgs_198_tpt_198_halfLds_sp_op_CI_CI_unitstride_sbrr_C2R_dirReg
    .private_segment_fixed_size: 0
    .sgpr_count:     41
    .sgpr_spill_count: 0
    .symbol:         fft_rtc_back_len1980_factors_11_2_3_3_5_2_wgs_198_tpt_198_halfLds_sp_op_CI_CI_unitstride_sbrr_C2R_dirReg.kd
    .uniform_work_group_size: 1
    .uses_dynamic_stack: false
    .vgpr_count:     98
    .vgpr_spill_count: 0
    .wavefront_size: 32
    .workgroup_processor_mode: 1
amdhsa.target:   amdgcn-amd-amdhsa--gfx1201
amdhsa.version:
  - 1
  - 2
...

	.end_amdgpu_metadata
